;; amdgpu-corpus repo=ROCm/rocFFT kind=compiled arch=gfx906 opt=O3
	.text
	.amdgcn_target "amdgcn-amd-amdhsa--gfx906"
	.amdhsa_code_object_version 6
	.protected	bluestein_single_fwd_len429_dim1_half_op_CI_CI ; -- Begin function bluestein_single_fwd_len429_dim1_half_op_CI_CI
	.globl	bluestein_single_fwd_len429_dim1_half_op_CI_CI
	.p2align	8
	.type	bluestein_single_fwd_len429_dim1_half_op_CI_CI,@function
bluestein_single_fwd_len429_dim1_half_op_CI_CI: ; @bluestein_single_fwd_len429_dim1_half_op_CI_CI
; %bb.0:
	v_mul_u32_u24_e32 v1, 0x691, v0
	s_load_dwordx4 s[0:3], s[4:5], 0x28
	v_lshrrev_b32_e32 v1, 16, v1
	v_mad_u64_u32 v[8:9], s[6:7], s6, 3, v[1:2]
	v_mov_b32_e32 v9, 0
	s_waitcnt lgkmcnt(0)
	v_cmp_gt_u64_e32 vcc, s[0:1], v[8:9]
	s_and_saveexec_b64 s[0:1], vcc
	s_cbranch_execz .LBB0_23
; %bb.1:
	s_mov_b32 s0, 0xaaaaaaab
	v_mul_hi_u32 v2, v8, s0
	v_mul_lo_u16_e32 v1, 39, v1
	s_load_dwordx2 s[6:7], s[4:5], 0x0
	s_load_dwordx2 s[12:13], s[4:5], 0x38
	v_sub_u16_e32 v34, v0, v1
	v_lshrrev_b32_e32 v0, 1, v2
	v_lshl_add_u32 v0, v0, 1, v0
	v_sub_u32_e32 v0, v8, v0
	v_mul_u32_u24_e32 v21, 0x1ad, v0
	v_cmp_gt_u16_e32 vcc, 33, v34
	v_lshlrev_b32_e32 v33, 2, v34
	v_lshlrev_b32_e32 v35, 2, v21
	s_and_saveexec_b64 s[14:15], vcc
	s_cbranch_execz .LBB0_3
; %bb.2:
	s_load_dwordx2 s[0:1], s[4:5], 0x18
	s_waitcnt lgkmcnt(0)
	s_load_dwordx4 s[8:11], s[0:1], 0x0
	s_waitcnt lgkmcnt(0)
	v_mad_u64_u32 v[0:1], s[0:1], s10, v8, 0
	v_mad_u64_u32 v[2:3], s[0:1], s8, v34, 0
	;; [unrolled: 1-line block ×4, first 2 shown]
	v_mov_b32_e32 v1, v4
	v_lshlrev_b64 v[0:1], 2, v[0:1]
	v_mov_b32_e32 v3, v5
	v_mov_b32_e32 v6, s3
	v_lshlrev_b64 v[2:3], 2, v[2:3]
	v_add_co_u32_e64 v0, s[0:1], s2, v0
	v_addc_co_u32_e64 v1, s[0:1], v6, v1, s[0:1]
	v_add_co_u32_e64 v0, s[0:1], v0, v2
	v_addc_co_u32_e64 v1, s[0:1], v1, v3, s[0:1]
	s_mul_i32 s0, s9, 0x84
	s_mul_hi_u32 s1, s8, 0x84
	s_mul_i32 s2, s8, 0x84
	s_add_i32 s3, s1, s0
	global_load_dword v2, v[0:1], off
	global_load_dword v3, v33, s[6:7]
	global_load_dword v4, v33, s[6:7] offset:132
	global_load_dword v5, v33, s[6:7] offset:264
	;; [unrolled: 1-line block ×7, first 2 shown]
	v_mov_b32_e32 v12, s3
	v_add_co_u32_e64 v0, s[0:1], s2, v0
	v_addc_co_u32_e64 v1, s[0:1], v1, v12, s[0:1]
	global_load_dword v12, v[0:1], off
	v_mov_b32_e32 v13, s3
	v_add_co_u32_e64 v0, s[0:1], s2, v0
	v_addc_co_u32_e64 v1, s[0:1], v1, v13, s[0:1]
	global_load_dword v13, v[0:1], off
	;; [unrolled: 4-line block ×4, first 2 shown]
	global_load_dword v16, v33, s[6:7] offset:1056
	global_load_dword v17, v33, s[6:7] offset:1188
	;; [unrolled: 1-line block ×3, first 2 shown]
	v_mov_b32_e32 v19, s3
	v_add_co_u32_e64 v0, s[0:1], s2, v0
	v_addc_co_u32_e64 v1, s[0:1], v1, v19, s[0:1]
	global_load_dword v19, v[0:1], off
	v_mov_b32_e32 v20, s3
	v_add_co_u32_e64 v0, s[0:1], s2, v0
	v_addc_co_u32_e64 v1, s[0:1], v1, v20, s[0:1]
	global_load_dword v20, v[0:1], off
	;; [unrolled: 4-line block ×7, first 2 shown]
	global_load_dword v29, v33, s[6:7] offset:1452
	v_mov_b32_e32 v30, s3
	v_add_co_u32_e64 v0, s[0:1], s2, v0
	v_addc_co_u32_e64 v1, s[0:1], v1, v30, s[0:1]
	global_load_dword v31, v[0:1], off
	global_load_dword v32, v33, s[6:7] offset:1584
	s_waitcnt vmcnt(25)
	v_lshrrev_b32_e32 v27, 16, v2
	s_waitcnt vmcnt(24)
	v_mul_f16_sdwa v28, v3, v27 dst_sel:DWORD dst_unused:UNUSED_PAD src0_sel:WORD_1 src1_sel:DWORD
	v_mul_f16_sdwa v0, v3, v2 dst_sel:DWORD dst_unused:UNUSED_PAD src0_sel:WORD_1 src1_sel:DWORD
	v_fma_f16 v28, v3, v2, v28
	v_fma_f16 v0, v3, v27, -v0
	v_lshl_add_u32 v30, v34, 2, v35
	v_pack_b32_f16 v0, v28, v0
	ds_write_b32 v30, v0
	v_add_u32_e32 v2, v35, v33
	s_waitcnt vmcnt(16)
	v_lshrrev_b32_e32 v0, 16, v12
	v_mul_f16_sdwa v1, v4, v0 dst_sel:DWORD dst_unused:UNUSED_PAD src0_sel:WORD_1 src1_sel:DWORD
	v_mul_f16_sdwa v3, v4, v12 dst_sel:DWORD dst_unused:UNUSED_PAD src0_sel:WORD_1 src1_sel:DWORD
	v_fma_f16 v1, v4, v12, v1
	v_fma_f16 v0, v4, v0, -v3
	v_pack_b32_f16 v0, v1, v0
	s_waitcnt vmcnt(15)
	v_lshrrev_b32_e32 v1, 16, v13
	v_mul_f16_sdwa v3, v5, v1 dst_sel:DWORD dst_unused:UNUSED_PAD src0_sel:WORD_1 src1_sel:DWORD
	v_mul_f16_sdwa v4, v5, v13 dst_sel:DWORD dst_unused:UNUSED_PAD src0_sel:WORD_1 src1_sel:DWORD
	v_fma_f16 v3, v5, v13, v3
	v_fma_f16 v1, v5, v1, -v4
	v_pack_b32_f16 v1, v3, v1
	ds_write2_b32 v2, v0, v1 offset0:33 offset1:66
	s_waitcnt vmcnt(14)
	v_lshrrev_b32_e32 v0, 16, v14
	v_mul_f16_sdwa v1, v6, v0 dst_sel:DWORD dst_unused:UNUSED_PAD src0_sel:WORD_1 src1_sel:DWORD
	v_mul_f16_sdwa v3, v6, v14 dst_sel:DWORD dst_unused:UNUSED_PAD src0_sel:WORD_1 src1_sel:DWORD
	v_fma_f16 v1, v6, v14, v1
	v_fma_f16 v0, v6, v0, -v3
	v_pack_b32_f16 v0, v1, v0
	s_waitcnt vmcnt(13)
	v_lshrrev_b32_e32 v1, 16, v15
	v_mul_f16_sdwa v3, v7, v1 dst_sel:DWORD dst_unused:UNUSED_PAD src0_sel:WORD_1 src1_sel:DWORD
	v_mul_f16_sdwa v4, v7, v15 dst_sel:DWORD dst_unused:UNUSED_PAD src0_sel:WORD_1 src1_sel:DWORD
	v_fma_f16 v3, v7, v15, v3
	v_fma_f16 v1, v7, v1, -v4
	v_pack_b32_f16 v1, v3, v1
	ds_write2_b32 v2, v0, v1 offset0:99 offset1:132
	;; [unrolled: 15-line block ×3, first 2 shown]
	s_waitcnt vmcnt(7)
	v_lshrrev_b32_e32 v0, 16, v22
	v_mul_f16_sdwa v1, v11, v0 dst_sel:DWORD dst_unused:UNUSED_PAD src0_sel:WORD_1 src1_sel:DWORD
	v_mul_f16_sdwa v3, v11, v22 dst_sel:DWORD dst_unused:UNUSED_PAD src0_sel:WORD_1 src1_sel:DWORD
	v_fma_f16 v1, v11, v22, v1
	v_fma_f16 v0, v11, v0, -v3
	v_pack_b32_f16 v0, v1, v0
	s_waitcnt vmcnt(6)
	v_lshrrev_b32_e32 v1, 16, v23
	v_mul_f16_sdwa v3, v16, v1 dst_sel:DWORD dst_unused:UNUSED_PAD src0_sel:WORD_1 src1_sel:DWORD
	v_mul_f16_sdwa v4, v16, v23 dst_sel:DWORD dst_unused:UNUSED_PAD src0_sel:WORD_1 src1_sel:DWORD
	v_fma_f16 v3, v16, v23, v3
	v_fma_f16 v1, v16, v1, -v4
	v_pack_b32_f16 v1, v3, v1
	v_add_u32_e32 v3, 0x200, v2
	ds_write2_b32 v3, v0, v1 offset0:103 offset1:136
	s_waitcnt vmcnt(5)
	v_lshrrev_b32_e32 v0, 16, v24
	v_mul_f16_sdwa v1, v17, v0 dst_sel:DWORD dst_unused:UNUSED_PAD src0_sel:WORD_1 src1_sel:DWORD
	v_mul_f16_sdwa v3, v17, v24 dst_sel:DWORD dst_unused:UNUSED_PAD src0_sel:WORD_1 src1_sel:DWORD
	v_fma_f16 v1, v17, v24, v1
	v_fma_f16 v0, v17, v0, -v3
	v_pack_b32_f16 v0, v1, v0
	s_waitcnt vmcnt(4)
	v_lshrrev_b32_e32 v1, 16, v25
	v_mul_f16_sdwa v3, v18, v1 dst_sel:DWORD dst_unused:UNUSED_PAD src0_sel:WORD_1 src1_sel:DWORD
	v_mul_f16_sdwa v4, v18, v25 dst_sel:DWORD dst_unused:UNUSED_PAD src0_sel:WORD_1 src1_sel:DWORD
	v_fma_f16 v3, v18, v25, v3
	v_fma_f16 v1, v18, v1, -v4
	v_pack_b32_f16 v1, v3, v1
	v_add_u32_e32 v2, 0x400, v2
	ds_write2_b32 v2, v0, v1 offset0:41 offset1:74
	s_waitcnt vmcnt(3)
	v_lshrrev_b32_e32 v0, 16, v26
	s_waitcnt vmcnt(2)
	v_mul_f16_sdwa v1, v29, v0 dst_sel:DWORD dst_unused:UNUSED_PAD src0_sel:WORD_1 src1_sel:DWORD
	v_mul_f16_sdwa v3, v29, v26 dst_sel:DWORD dst_unused:UNUSED_PAD src0_sel:WORD_1 src1_sel:DWORD
	v_fma_f16 v1, v29, v26, v1
	v_fma_f16 v0, v29, v0, -v3
	v_pack_b32_f16 v0, v1, v0
	s_waitcnt vmcnt(1)
	v_lshrrev_b32_e32 v1, 16, v31
	s_waitcnt vmcnt(0)
	v_mul_f16_sdwa v3, v32, v1 dst_sel:DWORD dst_unused:UNUSED_PAD src0_sel:WORD_1 src1_sel:DWORD
	v_mul_f16_sdwa v4, v32, v31 dst_sel:DWORD dst_unused:UNUSED_PAD src0_sel:WORD_1 src1_sel:DWORD
	v_fma_f16 v3, v32, v31, v3
	v_fma_f16 v1, v32, v1, -v4
	v_pack_b32_f16 v1, v3, v1
	ds_write2_b32 v2, v0, v1 offset0:107 offset1:140
.LBB0_3:
	s_or_b64 exec, exec, s[14:15]
	v_mov_b32_e32 v2, 0
	s_waitcnt lgkmcnt(0)
	s_barrier
	s_waitcnt lgkmcnt(0)
                                        ; implicit-def: $vgpr17
                                        ; implicit-def: $vgpr5
                                        ; implicit-def: $vgpr12
                                        ; implicit-def: $vgpr7
                                        ; implicit-def: $vgpr14
                                        ; implicit-def: $vgpr16
	s_and_saveexec_b64 s[0:1], vcc
	s_cbranch_execz .LBB0_5
; %bb.4:
	v_lshl_add_u32 v0, v21, 2, v33
	ds_read2_b32 v[2:3], v0 offset1:33
	ds_read2_b32 v[15:16], v0 offset0:66 offset1:99
	ds_read2_b32 v[13:14], v0 offset0:132 offset1:165
	;; [unrolled: 1-line block ×3, first 2 shown]
	v_add_u32_e32 v1, 0x400, v0
	ds_read2_b32 v[11:12], v1 offset0:8 offset1:41
	ds_read2_b32 v[4:5], v1 offset0:74 offset1:107
	ds_read_b32 v17, v0 offset:1584
.LBB0_5:
	s_or_b64 exec, exec, s[0:1]
	s_waitcnt lgkmcnt(0)
	v_pk_add_f16 v18, v3, v17 neg_lo:[0,1] neg_hi:[0,1]
	s_mov_b32 s0, 0xbbf1
	v_pk_add_f16 v9, v17, v3
	s_movk_i32 s14, 0x2fb7
	v_mul_f16_sdwa v36, v18, s0 dst_sel:DWORD dst_unused:UNUSED_PAD src0_sel:WORD_1 src1_sel:DWORD
	s_mov_b32 s17, 0xbb7b
	v_pk_add_f16 v20, v15, v5 neg_lo:[0,1] neg_hi:[0,1]
	s_mov_b32 s20, 0xb3a8
	v_fma_f16 v0, v9, s14, v36
	s_mov_b32 s15, 0xb5ac
	v_mul_f16_sdwa v41, v18, s17 dst_sel:DWORD dst_unused:UNUSED_PAD src0_sel:WORD_1 src1_sel:DWORD
	v_pk_add_f16 v19, v5, v15
	s_mov_b32 s18, 0xbbc4
	v_mul_f16_sdwa v40, v20, s20 dst_sel:DWORD dst_unused:UNUSED_PAD src0_sel:WORD_1 src1_sel:DWORD
	s_movk_i32 s1, 0x394e
	v_add_f16_e32 v0, v0, v2
	v_fma_f16 v1, v9, s15, v41
	v_fma_f16 v10, v19, s18, v40
	s_mov_b32 s19, 0xb9fd
	v_mul_f16_sdwa v43, v20, s1 dst_sel:DWORD dst_unused:UNUSED_PAD src0_sel:WORD_1 src1_sel:DWORD
	v_pk_add_f16 v26, v16, v4 neg_lo:[0,1] neg_hi:[0,1]
	s_movk_i32 s1, 0x3b7b
	v_add_f16_e32 v1, v1, v2
	v_add_f16_e32 v0, v10, v0
	v_fma_f16 v10, v19, s19, v43
	v_pk_add_f16 v25, v4, v16
	v_mul_f16_sdwa v42, v26, s1 dst_sel:DWORD dst_unused:UNUSED_PAD src0_sel:WORD_1 src1_sel:DWORD
	s_movk_i32 s21, 0x3770
	s_movk_i32 s10, 0x3b15
	v_add_f16_e32 v1, v10, v1
	v_fma_f16 v10, v25, s15, v42
	v_mul_f16_sdwa v45, v26, s21 dst_sel:DWORD dst_unused:UNUSED_PAD src0_sel:WORD_1 src1_sel:DWORD
	v_pk_add_f16 v29, v13, v12 neg_lo:[0,1] neg_hi:[0,1]
	v_add_f16_e32 v0, v10, v0
	v_fma_f16 v10, v25, s10, v45
	v_pk_add_f16 v27, v12, v13
	v_mul_f16_sdwa v44, v29, s21 dst_sel:DWORD dst_unused:UNUSED_PAD src0_sel:WORD_1 src1_sel:DWORD
	s_mov_b32 s16, 0xba95
	v_add_f16_e32 v1, v10, v1
	v_fma_f16 v10, v27, s10, v44
	v_mul_f16_sdwa v47, v29, s0 dst_sel:DWORD dst_unused:UNUSED_PAD src0_sel:WORD_1 src1_sel:DWORD
	v_pk_add_f16 v31, v14, v11 neg_lo:[0,1] neg_hi:[0,1]
	s_movk_i32 s11, 0x388b
	v_add_f16_e32 v0, v10, v0
	v_fma_f16 v10, v27, s14, v47
	v_pk_add_f16 v30, v11, v14
	v_mul_f16_sdwa v46, v31, s16 dst_sel:DWORD dst_unused:UNUSED_PAD src0_sel:WORD_1 src1_sel:DWORD
	s_movk_i32 s22, 0x33a8
	v_add_f16_e32 v1, v10, v1
	v_fma_f16 v10, v30, s11, v46
	v_mul_f16_sdwa v50, v31, s22 dst_sel:DWORD dst_unused:UNUSED_PAD src0_sel:WORD_1 src1_sel:DWORD
	s_mov_b32 s23, 0xb94e
	v_pk_add_f16 v38, v6, v7 neg_lo:[0,1] neg_hi:[0,1]
	v_add_f16_e32 v0, v10, v0
	v_fma_f16 v10, v30, s18, v50
	v_pk_add_f16 v32, v7, v6
	v_mul_f16_sdwa v51, v38, s23 dst_sel:DWORD dst_unused:UNUSED_PAD src0_sel:WORD_1 src1_sel:DWORD
	s_movk_i32 s24, 0x3a95
	v_add_f16_e32 v10, v10, v1
	v_fma_f16 v1, v32, s19, v51
	v_mul_f16_sdwa v56, v38, s24 dst_sel:DWORD dst_unused:UNUSED_PAD src0_sel:WORD_1 src1_sel:DWORD
	s_mov_b32 s1, 0xb770
	v_add_f16_e32 v1, v1, v0
	v_fma_f16 v0, v32, s11, v56
	v_mul_f16_sdwa v48, v18, s1 dst_sel:DWORD dst_unused:UNUSED_PAD src0_sel:WORD_1 src1_sel:DWORD
	v_add_f16_e32 v0, v0, v10
	v_fma_f16 v10, v9, s10, v48
	v_mul_f16_sdwa v49, v20, s16 dst_sel:DWORD dst_unused:UNUSED_PAD src0_sel:WORD_1 src1_sel:DWORD
	v_add_f16_e32 v10, v10, v2
	v_fma_f16 v22, v19, s11, v49
	v_lshrrev_b32_e32 v82, 16, v9
	v_mul_f16_e32 v53, 0xba95, v18
	v_add_f16_e32 v10, v22, v10
	v_fma_f16 v22, v82, s11, -v53
	v_lshrrev_b32_e32 v80, 16, v19
	v_mul_f16_e32 v54, 0xbb7b, v20
	v_add_f16_sdwa v22, v22, v2 dst_sel:DWORD dst_unused:UNUSED_PAD src0_sel:DWORD src1_sel:WORD_1
	v_fma_f16 v23, v80, s15, -v54
	v_mul_f16_e32 v60, 0xbbf1, v18
	v_add_f16_e32 v22, v23, v22
	v_fma_f16 v23, v82, s14, -v60
	v_mul_f16_e32 v61, 0xb3a8, v20
	v_add_f16_sdwa v23, v23, v2 dst_sel:DWORD dst_unused:UNUSED_PAD src0_sel:DWORD src1_sel:WORD_1
	v_fma_f16 v24, v80, s18, -v61
	v_mul_f16_e32 v67, 0xbb7b, v18
	v_add_f16_e32 v23, v24, v23
	v_fma_f16 v24, v82, s15, -v67
	v_mul_f16_e32 v69, 0x394e, v20
	v_add_f16_sdwa v24, v24, v2 dst_sel:DWORD dst_unused:UNUSED_PAD src0_sel:DWORD src1_sel:WORD_1
	v_fma_f16 v28, v80, s19, -v69
	v_mul_f16_sdwa v52, v26, s0 dst_sel:DWORD dst_unused:UNUSED_PAD src0_sel:WORD_1 src1_sel:DWORD
	v_add_f16_e32 v24, v28, v24
	v_fma_f16 v28, v25, s14, v52
	v_lshrrev_b32_e32 v85, 16, v25
	v_mul_f16_e32 v58, 0xb3a8, v26
	v_add_f16_e32 v10, v28, v10
	v_fma_f16 v28, v85, s18, -v58
	v_mul_f16_e32 v63, 0x3b7b, v26
	v_add_f16_e32 v22, v28, v22
	v_fma_f16 v28, v85, s15, -v63
	v_mul_f16_e32 v76, 0x3770, v26
	v_add_f16_e32 v23, v28, v23
	v_fma_f16 v28, v85, s10, -v76
	v_mul_f16_sdwa v55, v29, s17 dst_sel:DWORD dst_unused:UNUSED_PAD src0_sel:WORD_1 src1_sel:DWORD
	v_add_f16_e32 v24, v28, v24
	v_fma_f16 v28, v27, s15, v55
	v_lshrrev_b32_e32 v89, 16, v27
	v_mul_f16_e32 v59, 0x394e, v29
	v_add_f16_e32 v10, v28, v10
	v_fma_f16 v28, v89, s19, -v59
	v_mul_f16_e32 v65, 0x3770, v29
	v_add_f16_e32 v22, v28, v22
	v_fma_f16 v28, v89, s10, -v65
	v_mul_f16_e32 v84, 0xbbf1, v29
	v_add_f16_e32 v23, v28, v23
	;; [unrolled: 13-line block ×3, first 2 shown]
	v_fma_f16 v23, v91, s18, -v88
	v_lshrrev_b32_e32 v92, 16, v32
	v_mul_f16_e32 v64, 0x3770, v38
	v_add_f16_e32 v37, v23, v24
	v_fma_f16 v23, v92, s10, -v64
	v_mul_f16_e32 v79, 0xb94e, v38
	v_add_f16_e32 v23, v23, v22
	v_fma_f16 v22, v92, s19, -v79
	s_mov_b32 s0, 0x3b15388b
	v_add_f16_e32 v24, v22, v28
	s_mov_b32 s1, 0xba95b770
	v_pk_mul_f16 v28, v9, s0
	s_mov_b32 s0, 0x388bb5ac
	v_pk_fma_f16 v66, v18, s1, v28 op_sel:[0,0,1] op_sel_hi:[1,1,0] neg_lo:[1,0,0] neg_hi:[1,0,0]
	v_pk_fma_f16 v68, v18, s1, v28 op_sel:[0,0,1] op_sel_hi:[1,1,0]
	s_mov_b32 s1, 0xbb7bba95
	v_pk_mul_f16 v28, v19, s0
	s_mov_b32 s0, 0x2fb7bbc4
	v_pk_fma_f16 v70, v20, s1, v28 op_sel:[0,0,1] op_sel_hi:[1,1,0] neg_lo:[1,0,0] neg_hi:[1,0,0]
	v_pk_fma_f16 v71, v20, s1, v28 op_sel:[0,0,1] op_sel_hi:[1,1,0]
	;; [unrolled: 5-line block ×4, first 2 shown]
	s_mov_b32 s1, 0x3bf1b94e
	v_pk_mul_f16 v28, v30, s0
	v_mul_f16_sdwa v73, v38, s20 dst_sel:DWORD dst_unused:UNUSED_PAD src0_sel:WORD_1 src1_sel:DWORD
	v_pk_fma_f16 v81, v31, s1, v28 op_sel:[0,0,1] op_sel_hi:[1,1,0] neg_lo:[1,0,0] neg_hi:[1,0,0]
	v_pk_fma_f16 v83, v31, s1, v28 op_sel:[0,0,1] op_sel_hi:[1,1,0]
	v_fma_f16 v28, v32, s18, v73
	v_add_f16_e32 v10, v28, v10
	v_add_f16_sdwa v28, v66, v2 dst_sel:DWORD dst_unused:UNUSED_PAD src0_sel:DWORD src1_sel:WORD_1
	v_mul_f16_e32 v90, 0x3a95, v38
	v_add_f16_e32 v28, v70, v28
	v_fma_f16 v22, v92, s11, -v90
	s_mov_b32 s0, 0xbbc43b15
	v_add_f16_e32 v28, v74, v28
	v_add_f16_e32 v22, v22, v37
	s_mov_b32 s1, 0x3770b3a8
	v_add_f16_e32 v28, v77, v28
	v_pk_mul_f16 v37, v32, s0
	v_add_f16_e32 v28, v81, v28
	v_pk_fma_f16 v86, v38, s1, v37 op_sel:[0,0,1] op_sel_hi:[1,1,0] neg_lo:[1,0,0] neg_hi:[1,0,0]
	v_add_f16_e32 v39, v86, v28
	v_add_f16_sdwa v28, v68, v2 dst_sel:DWORD dst_unused:UNUSED_PAD src0_sel:WORD_1 src1_sel:DWORD
	s_load_dwordx2 s[8:9], s[4:5], 0x20
	s_load_dwordx2 s[2:3], s[4:5], 0x8
	v_add_f16_sdwa v28, v71, v28 dst_sel:DWORD dst_unused:UNUSED_PAD src0_sel:WORD_1 src1_sel:DWORD
	v_add_f16_sdwa v28, v75, v28 dst_sel:DWORD dst_unused:UNUSED_PAD src0_sel:WORD_1 src1_sel:DWORD
	;; [unrolled: 1-line block ×3, first 2 shown]
	v_pk_fma_f16 v87, v38, s1, v37 op_sel:[0,0,1] op_sel_hi:[1,1,0]
	v_add_f16_sdwa v28, v83, v28 dst_sel:DWORD dst_unused:UNUSED_PAD src0_sel:WORD_1 src1_sel:DWORD
	s_movk_i32 s4, 0x3bf1
	v_add_f16_sdwa v28, v87, v28 dst_sel:DWORD dst_unused:UNUSED_PAD src0_sel:WORD_1 src1_sel:DWORD
	v_mul_lo_u16_e32 v37, 13, v34
	s_waitcnt lgkmcnt(0)
	s_barrier
	s_and_saveexec_b64 s[0:1], vcc
	s_cbranch_execz .LBB0_7
; %bb.6:
	v_mul_f16_e32 v96, 0x2fb7, v9
	v_mul_f16_e32 v101, 0xbbc4, v19
	v_sub_f16_e32 v36, v96, v36
	v_mul_f16_e32 v98, 0xb5ac, v9
	v_mul_f16_e32 v106, 0xb5ac, v25
	v_add_f16_e32 v36, v36, v2
	v_sub_f16_e32 v40, v101, v40
	v_mul_f16_e32 v103, 0xb9fd, v19
	v_mul_f16_e32 v111, 0x3b15, v27
	v_sub_f16_e32 v41, v98, v41
	v_add_f16_e32 v36, v40, v36
	v_sub_f16_e32 v40, v106, v42
	v_alignbit_b32 v93, v2, v2, 16
	v_mul_f16_e32 v108, 0x3b15, v25
	v_mul_f16_e32 v116, 0x388b, v30
	v_add_f16_e32 v41, v41, v2
	v_sub_f16_e32 v43, v103, v43
	v_add_f16_e32 v36, v40, v36
	v_sub_f16_e32 v40, v111, v44
	v_mul_f16_e32 v113, 0x2fb7, v27
	v_mul_f16_e32 v121, 0xb9fd, v32
	v_add_f16_e32 v41, v43, v41
	v_sub_f16_e32 v43, v108, v45
	v_add_f16_e32 v36, v40, v36
	v_sub_f16_e32 v40, v116, v46
	v_pk_add_f16 v3, v3, v93 op_sel:[0,1] op_sel_hi:[1,0]
	v_mul_f16_e32 v95, 0x388b, v82
	v_mul_f16_e32 v118, 0xbbc4, v30
	v_add_f16_e32 v41, v43, v41
	v_sub_f16_e32 v43, v113, v47
	v_add_f16_e32 v36, v40, v36
	v_sub_f16_e32 v40, v121, v51
	v_pk_add_f16 v3, v15, v3
	v_mul_f16_e32 v100, 0xb5ac, v80
	v_mul_f16_e32 v123, 0x388b, v32
	v_add_f16_e32 v41, v43, v41
	v_sub_f16_e32 v43, v118, v50
	v_add_f16_e32 v36, v40, v36
	v_add_f16_e32 v40, v53, v95
	v_pk_add_f16 v3, v16, v3
	v_mul_f16_e32 v97, 0x2fb7, v82
	v_mul_f16_e32 v105, 0xbbc4, v85
	v_add_f16_e32 v41, v43, v41
	v_sub_f16_e32 v43, v123, v56
	v_add_f16_sdwa v40, v40, v2 dst_sel:DWORD dst_unused:UNUSED_PAD src0_sel:DWORD src1_sel:WORD_1
	v_add_f16_e32 v42, v54, v100
	v_pk_add_f16 v3, v13, v3
	v_mul_f16_e32 v102, 0xbbc4, v80
	v_mul_f16_e32 v110, 0xb9fd, v89
	v_add_f16_e32 v41, v43, v41
	v_add_f16_e32 v43, v60, v97
	;; [unrolled: 1-line block ×4, first 2 shown]
	v_pk_add_f16 v3, v14, v3
	v_mul_f16_e32 v107, 0xb5ac, v85
	v_mul_f16_e32 v115, 0x2fb7, v91
	v_add_f16_sdwa v43, v43, v2 dst_sel:DWORD dst_unused:UNUSED_PAD src0_sel:DWORD src1_sel:WORD_1
	v_add_f16_e32 v45, v61, v102
	v_add_f16_e32 v40, v42, v40
	;; [unrolled: 1-line block ×3, first 2 shown]
	v_pk_add_f16 v3, v6, v3
	v_mul_f16_e32 v112, 0x3b15, v89
	v_mul_f16_e32 v120, 0x3b15, v92
	v_add_f16_e32 v43, v45, v43
	v_add_f16_e32 v45, v63, v107
	;; [unrolled: 1-line block ×4, first 2 shown]
	v_pk_add_f16 v3, v7, v3
	v_mul_f16_e32 v94, 0x3b15, v9
	v_mul_f16_e32 v82, 0xb5ac, v82
	;; [unrolled: 1-line block ×3, first 2 shown]
	v_add_f16_e32 v43, v45, v43
	v_add_f16_e32 v45, v65, v112
	;; [unrolled: 1-line block ×4, first 2 shown]
	s_mov_b32 s5, 0xffff
	v_pk_add_f16 v3, v11, v3
	v_mul_f16_e32 v99, 0x388b, v19
	v_mul_f16_e32 v122, 0xb9fd, v92
	v_add_f16_e32 v67, v67, v82
	v_add_f16_e32 v43, v45, v43
	;; [unrolled: 1-line block ×4, first 2 shown]
	v_bfi_b32 v42, s5, v68, v66
	v_sub_f16_e32 v48, v94, v48
	v_pk_add_f16 v3, v12, v3
	v_mul_f16_e32 v80, 0xb9fd, v80
	v_mul_f16_e32 v104, 0x2fb7, v25
	v_add_f16_sdwa v67, v67, v2 dst_sel:DWORD dst_unused:UNUSED_PAD src0_sel:DWORD src1_sel:WORD_1
	v_add_f16_e32 v43, v45, v43
	v_add_f16_e32 v45, v79, v122
	v_bfi_b32 v44, s5, v71, v70
	v_add_f16_e32 v2, v48, v2
	v_sub_f16_e32 v48, v99, v49
	v_pk_add_f16 v3, v4, v3
	v_pk_add_f16 v4, v42, v93
	v_mul_f16_e32 v85, 0x3b15, v85
	v_mul_f16_e32 v109, 0xb5ac, v27
	v_add_f16_e32 v69, v69, v80
	v_add_f16_e32 v43, v45, v43
	v_bfi_b32 v45, s5, v75, v74
	v_add_f16_e32 v2, v48, v2
	v_sub_f16_e32 v48, v104, v52
	v_pk_add_f16 v4, v44, v4
	v_mul_f16_e32 v89, 0x2fb7, v89
	v_mul_f16_e32 v114, 0xb9fd, v30
	v_add_f16_e32 v67, v69, v67
	v_add_f16_e32 v69, v76, v85
	v_bfi_b32 v46, s5, v78, v77
	v_add_f16_e32 v2, v48, v2
	v_sub_f16_e32 v48, v109, v55
	;; [unrolled: 8-line block ×3, first 2 shown]
	v_pk_add_f16 v4, v46, v4
	v_mul_f16_e32 v92, 0x388b, v92
	v_add_f16_e32 v67, v69, v67
	v_add_f16_e32 v69, v88, v91
	v_bfi_b32 v50, s5, v87, v86
	v_add_f16_e32 v2, v48, v2
	v_sub_f16_e32 v48, v119, v73
	v_pk_add_f16 v4, v47, v4
	v_add_f16_e32 v67, v69, v67
	v_add_f16_e32 v69, v90, v92
	;; [unrolled: 1-line block ×3, first 2 shown]
	v_pk_add_f16 v4, v50, v4
	v_add_f16_e32 v67, v69, v67
	v_add_lshl_u32 v48, v21, v37, 2
	v_pk_add_f16 v3, v5, v3
	v_alignbit_b32 v5, v40, v4, 16
	v_pack_b32_f16 v2, v2, v4
	ds_write2_b32 v48, v2, v5 offset0:1 offset1:2
	v_pack_b32_f16 v2, v41, v67
	v_pack_b32_f16 v4, v36, v43
	ds_write2_b32 v48, v4, v2 offset0:3 offset1:4
	v_pk_mul_f16 v2, v9, s18 op_sel_hi:[1,0]
	v_pk_fma_f16 v4, v18, s20, v2 op_sel:[0,0,1] op_sel_hi:[1,0,0] neg_lo:[1,0,0] neg_hi:[1,0,0]
	v_pk_mul_f16 v5, v19, s10 op_sel_hi:[1,0]
	v_pk_add_f16 v4, v4, v93
	v_pk_fma_f16 v6, v20, s21, v5 op_sel:[0,0,1] op_sel_hi:[1,0,0] neg_lo:[1,0,0] neg_hi:[1,0,0]
	v_pk_add_f16 v4, v6, v4
	v_pk_mul_f16 v6, v25, s19 op_sel_hi:[1,0]
	v_pk_fma_f16 v7, v26, s23, v6 op_sel:[0,0,1] op_sel_hi:[1,0,0] neg_lo:[1,0,0] neg_hi:[1,0,0]
	v_pk_add_f16 v4, v7, v4
	v_pk_mul_f16 v7, v27, s11 op_sel_hi:[1,0]
	v_pk_fma_f16 v2, v18, s20, v2 op_sel:[0,0,1] op_sel_hi:[1,0,0]
	v_pk_fma_f16 v11, v29, s24, v7 op_sel:[0,0,1] op_sel_hi:[1,0,0] neg_lo:[1,0,0] neg_hi:[1,0,0]
	v_pk_add_f16 v2, v2, v93
	v_pk_fma_f16 v5, v20, s21, v5 op_sel:[0,0,1] op_sel_hi:[1,0,0]
	v_pk_add_f16 v4, v11, v4
	v_pk_mul_f16 v11, v30, s15 op_sel_hi:[1,0]
	v_pk_add_f16 v2, v5, v2
	v_pk_fma_f16 v5, v26, s23, v6 op_sel:[0,0,1] op_sel_hi:[1,0,0]
	v_pk_fma_f16 v12, v31, s17, v11 op_sel:[0,0,1] op_sel_hi:[1,0,0] neg_lo:[1,0,0] neg_hi:[1,0,0]
	v_pk_add_f16 v2, v5, v2
	v_pk_fma_f16 v5, v29, s24, v7 op_sel:[0,0,1] op_sel_hi:[1,0,0]
	v_pk_add_f16 v4, v12, v4
	v_pk_mul_f16 v12, v32, s14 op_sel_hi:[1,0]
	v_pk_add_f16 v2, v5, v2
	v_pk_fma_f16 v5, v31, s17, v11 op_sel:[0,0,1] op_sel_hi:[1,0,0]
	v_pk_add_f16 v2, v5, v2
	v_pk_fma_f16 v5, v38, s4, v12 op_sel:[0,0,1] op_sel_hi:[1,0,0]
	v_pk_add_f16 v2, v5, v2
	v_pk_mul_f16 v5, v18, s23 op_sel_hi:[1,0]
	v_pk_fma_f16 v6, v9, s19, v5 op_sel:[0,0,1] op_sel_hi:[1,0,0]
	v_pk_mul_f16 v11, v20, s4 op_sel_hi:[1,0]
	v_pk_fma_f16 v13, v38, s4, v12 op_sel:[0,0,1] op_sel_hi:[1,0,0] neg_lo:[1,0,0] neg_hi:[1,0,0]
	v_alignbit_b32 v7, s0, v6, 16
	v_pk_fma_f16 v12, v19, s14, v11 op_sel:[0,0,1] op_sel_hi:[1,0,0]
	v_pk_add_f16 v4, v13, v4
	v_pk_add_f16 v7, v7, v93
	v_alignbit_b32 v13, s0, v12, 16
	v_pk_add_f16 v7, v13, v7
	v_pk_mul_f16 v13, v26, s16 op_sel_hi:[1,0]
	v_pk_fma_f16 v14, v25, s11, v13 op_sel:[0,0,1] op_sel_hi:[1,0,0]
	v_alignbit_b32 v15, s0, v14, 16
	v_pk_add_f16 v7, v15, v7
	v_pk_mul_f16 v15, v29, s22 op_sel_hi:[1,0]
	v_pk_fma_f16 v16, v27, s18, v15 op_sel:[0,0,1] op_sel_hi:[1,0,0]
	v_pk_add_f16 v3, v17, v3
	v_alignbit_b32 v17, s0, v16, 16
	v_pk_add_f16 v7, v17, v7
	v_pk_mul_f16 v17, v31, s21 op_sel_hi:[1,0]
	v_pk_fma_f16 v5, v9, s19, v5 op_sel:[0,0,1] op_sel_hi:[1,0,0] neg_lo:[0,0,1] neg_hi:[0,0,1]
	v_alignbit_b32 v9, s0, v93, 16
	v_pk_fma_f16 v18, v30, s10, v17 op_sel:[0,0,1] op_sel_hi:[1,0,0]
	v_pk_add_f16 v9, v5, v9
	v_pk_fma_f16 v11, v19, s14, v11 op_sel:[0,0,1] op_sel_hi:[1,0,0] neg_lo:[0,0,1] neg_hi:[0,0,1]
	v_bfi_b32 v5, s5, v6, v5
	v_alignbit_b32 v20, s0, v18, 16
	v_pk_add_f16 v9, v11, v9
	v_pk_fma_f16 v13, v25, s11, v13 op_sel:[0,0,1] op_sel_hi:[1,0,0] neg_lo:[0,0,1] neg_hi:[0,0,1]
	v_pk_add_f16 v5, v5, v93 op_sel:[0,1] op_sel_hi:[1,0]
	v_bfi_b32 v6, s5, v12, v11
	v_pk_add_f16 v7, v20, v7
	v_pk_mul_f16 v20, v38, s17 op_sel_hi:[1,0]
	v_pk_add_f16 v9, v13, v9
	v_pk_fma_f16 v15, v27, s18, v15 op_sel:[0,0,1] op_sel_hi:[1,0,0] neg_lo:[0,0,1] neg_hi:[0,0,1]
	v_pk_add_f16 v5, v6, v5
	v_bfi_b32 v6, s5, v14, v13
	v_pk_fma_f16 v26, v32, s15, v20 op_sel:[0,0,1] op_sel_hi:[1,0,0]
	v_pk_add_f16 v9, v15, v9
	v_pk_fma_f16 v17, v30, s10, v17 op_sel:[0,0,1] op_sel_hi:[1,0,0] neg_lo:[0,0,1] neg_hi:[0,0,1]
	v_pk_add_f16 v5, v6, v5
	v_bfi_b32 v6, s5, v16, v15
	v_alignbit_b32 v29, s0, v26, 16
	v_pk_add_f16 v9, v17, v9
	v_pk_fma_f16 v19, v32, s15, v20 op_sel:[0,0,1] op_sel_hi:[1,0,0] neg_lo:[0,0,1] neg_hi:[0,0,1]
	v_pk_add_f16 v5, v6, v5
	v_bfi_b32 v6, s5, v18, v17
	v_pk_add_f16 v7, v29, v7
	v_pk_add_f16 v9, v19, v9
	;; [unrolled: 1-line block ×3, first 2 shown]
	v_bfi_b32 v6, s5, v26, v19
	v_pk_add_f16 v5, v6, v5
	v_pack_b32_f16 v6, v9, v7
	ds_write2_b32 v48, v3, v6 offset1:5
	v_alignbit_b32 v3, v4, v2, 16
	v_alignbit_b32 v2, v2, v4, 16
	s_mov_b32 s4, 0x5040100
	ds_write2_b32 v48, v2, v3 offset0:6 offset1:7
	v_perm_b32 v2, v22, v0, s4
	ds_write2_b32 v48, v5, v2 offset0:8 offset1:9
	v_perm_b32 v2, v23, v28, s4
	v_perm_b32 v3, v24, v1, s4
	ds_write2_b32 v48, v3, v2 offset0:10 offset1:11
	v_perm_b32 v2, v39, v10, s4
	ds_write_b32 v48, v2 offset:48
.LBB0_7:
	s_or_b64 exec, exec, s[0:1]
	v_add_lshl_u32 v38, v21, v34, 2
	v_add_u32_e32 v6, 0x400, v38
	s_waitcnt lgkmcnt(0)
	s_barrier
	ds_read2_b32 v[4:5], v38 offset1:39
	ds_read2_b32 v[2:3], v38 offset0:78 offset1:143
	ds_read2_b32 v[6:7], v6 offset0:30 offset1:69
	;; [unrolled: 1-line block ×3, first 2 shown]
	ds_read_b32 v9, v38 offset:1456
	v_cmp_gt_u16_e64 s[0:1], 26, v34
	s_and_saveexec_b64 s[4:5], s[0:1]
	s_cbranch_execz .LBB0_9
; %bb.8:
	v_add_u32_e32 v0, 0x100, v38
	ds_read2_b32 v[0:1], v0 offset0:53 offset1:196
	ds_read_b32 v28, v38 offset:1612
	s_waitcnt lgkmcnt(1)
	v_lshrrev_b32_e32 v22, 16, v0
	v_lshrrev_b32_e32 v24, 16, v1
	s_waitcnt lgkmcnt(0)
	v_lshrrev_b32_e32 v23, 16, v28
.LBB0_9:
	s_or_b64 exec, exec, s[4:5]
	s_movk_i32 s4, 0x4f
	v_add_u16_e32 v13, 39, v34
	v_mul_lo_u16_sdwa v14, v13, s4 dst_sel:DWORD dst_unused:UNUSED_PAD src0_sel:BYTE_0 src1_sel:DWORD
	v_mul_lo_u16_sdwa v11, v34, s4 dst_sel:DWORD dst_unused:UNUSED_PAD src0_sel:BYTE_0 src1_sel:DWORD
	v_lshrrev_b16_e32 v27, 10, v14
	v_lshrrev_b16_e32 v25, 10, v11
	v_mul_lo_u16_e32 v14, 13, v27
	v_mul_lo_u16_e32 v11, 13, v25
	v_sub_u16_e32 v29, v13, v14
	v_add_u16_e32 v14, 0x4e, v34
	v_sub_u16_e32 v26, v34, v11
	v_mov_b32_e32 v11, 3
	v_mul_lo_u16_sdwa v15, v14, s4 dst_sel:DWORD dst_unused:UNUSED_PAD src0_sel:BYTE_0 src1_sel:DWORD
	v_lshlrev_b32_sdwa v12, v11, v26 dst_sel:DWORD dst_unused:UNUSED_PAD src0_sel:DWORD src1_sel:BYTE_0
	v_lshrrev_b16_e32 v30, 10, v15
	global_load_dwordx2 v[15:16], v12, s[2:3]
	v_mul_lo_u16_e32 v12, 13, v30
	v_add_u16_e32 v32, 0x75, v34
	v_sub_u16_e32 v31, v14, v12
	v_mul_lo_u16_sdwa v17, v32, s4 dst_sel:DWORD dst_unused:UNUSED_PAD src0_sel:BYTE_0 src1_sel:DWORD
	v_lshlrev_b32_sdwa v12, v11, v31 dst_sel:DWORD dst_unused:UNUSED_PAD src0_sel:DWORD src1_sel:BYTE_0
	v_lshrrev_b16_e32 v36, 10, v17
	global_load_dwordx2 v[17:18], v12, s[2:3]
	v_mul_lo_u16_e32 v12, 13, v36
	v_sub_u16_e32 v40, v32, v12
	v_lshlrev_b32_sdwa v13, v11, v29 dst_sel:DWORD dst_unused:UNUSED_PAD src0_sel:DWORD src1_sel:BYTE_0
	v_lshlrev_b32_sdwa v11, v11, v40 dst_sel:DWORD dst_unused:UNUSED_PAD src0_sel:DWORD src1_sel:BYTE_0
	global_load_dwordx2 v[13:14], v13, s[2:3]
	s_waitcnt lgkmcnt(3)
	v_lshrrev_b32_e32 v41, 16, v3
	global_load_dwordx2 v[11:12], v11, s[2:3]
	s_waitcnt lgkmcnt(2)
	v_lshrrev_b32_e32 v42, 16, v6
	s_waitcnt lgkmcnt(1)
	v_lshrrev_b32_e32 v44, 16, v19
	v_lshrrev_b32_e32 v45, 16, v7
	;; [unrolled: 1-line block ×3, first 2 shown]
	s_movk_i32 s4, 0x3aee
	s_mov_b32 s5, 0xbaee
	v_lshrrev_b32_e32 v43, 16, v5
	v_lshrrev_b32_e32 v47, 16, v20
	v_mul_u32_u24_e32 v25, 39, v25
	s_waitcnt lgkmcnt(0)
	v_lshrrev_b32_e32 v48, 16, v9
	v_add_u32_sdwa v25, v25, v26 dst_sel:DWORD dst_unused:UNUSED_PAD src0_sel:DWORD src1_sel:BYTE_0
	s_load_dwordx4 s[8:11], s[8:9], 0x0
	s_waitcnt vmcnt(0) lgkmcnt(0)
	s_barrier
	v_lshrrev_b32_e32 v46, 16, v2
	v_mul_f16_sdwa v49, v41, v15 dst_sel:DWORD dst_unused:UNUSED_PAD src0_sel:DWORD src1_sel:WORD_1
	v_mul_f16_sdwa v50, v3, v15 dst_sel:DWORD dst_unused:UNUSED_PAD src0_sel:DWORD src1_sel:WORD_1
	;; [unrolled: 1-line block ×4, first 2 shown]
	v_fma_f16 v49, v3, v15, -v49
	v_fma_f16 v41, v41, v15, v50
	v_fma_f16 v50, v6, v16, -v51
	v_fma_f16 v42, v42, v16, v52
	v_add_f16_e32 v52, v32, v41
	v_mul_f16_sdwa v57, v47, v17 dst_sel:DWORD dst_unused:UNUSED_PAD src0_sel:DWORD src1_sel:WORD_1
	v_mul_f16_sdwa v58, v20, v17 dst_sel:DWORD dst_unused:UNUSED_PAD src0_sel:DWORD src1_sel:WORD_1
	;; [unrolled: 1-line block ×11, first 2 shown]
	v_fma_f16 v19, v19, v13, -v53
	v_fma_f16 v51, v7, v14, -v55
	v_fma_f16 v6, v24, v11, v62
	v_add_f16_e32 v24, v49, v50
	v_fma_f16 v44, v44, v13, v54
	v_fma_f16 v45, v45, v14, v56
	v_fma_f16 v3, v28, v12, -v63
	v_fma_f16 v7, v23, v12, v64
	v_add_f16_e32 v23, v4, v49
	v_sub_f16_e32 v28, v41, v42
	v_add_f16_e32 v41, v41, v42
	v_add_f16_e32 v54, v19, v51
	v_fma_f16 v4, v24, -0.5, v4
	v_sub_f16_e32 v49, v49, v50
	v_add_f16_e32 v53, v5, v19
	v_add_f16_e32 v23, v23, v50
	v_fma_f16 v32, v41, -0.5, v32
	v_fma_f16 v5, v54, -0.5, v5
	v_fma_f16 v50, v28, s4, v4
	v_fma_f16 v28, v28, s5, v4
	v_sub_f16_e32 v4, v44, v45
	v_add_f16_e32 v24, v52, v42
	v_add_f16_e32 v41, v53, v51
	v_fma_f16 v52, v49, s5, v32
	v_fma_f16 v32, v49, s4, v32
	;; [unrolled: 1-line block ×4, first 2 shown]
	v_add_f16_e32 v4, v43, v44
	v_add_f16_e32 v54, v4, v45
	;; [unrolled: 1-line block ×3, first 2 shown]
	v_fma_f16 v20, v20, v17, -v57
	v_fma_f16 v4, v4, -0.5, v43
	v_sub_f16_e32 v5, v19, v51
	v_add_lshl_u32 v42, v21, v25, 2
	v_pack_b32_f16 v23, v23, v24
	v_pack_b32_f16 v24, v50, v52
	v_mul_f16_sdwa v60, v9, v18 dst_sel:DWORD dst_unused:UNUSED_PAD src0_sel:DWORD src1_sel:WORD_1
	v_fma_f16 v9, v9, v18, -v59
	v_fma_f16 v44, v5, s5, v4
	v_fma_f16 v51, v5, s4, v4
	v_add_f16_e32 v4, v2, v20
	ds_write2_b32 v42, v23, v24 offset1:13
	v_pack_b32_f16 v23, v28, v32
	v_fma_f16 v47, v47, v17, v58
	v_fma_f16 v48, v48, v18, v60
	v_add_f16_e32 v55, v4, v9
	v_add_f16_e32 v4, v20, v9
	ds_write_b32 v42, v23 offset:104
	v_mul_u32_u24_e32 v23, 39, v27
	v_fma_f16 v2, v4, -0.5, v2
	v_sub_f16_e32 v4, v47, v48
	v_add_u32_sdwa v23, v23, v29 dst_sel:DWORD dst_unused:UNUSED_PAD src0_sel:DWORD src1_sel:BYTE_0
	v_fma_f16 v56, v4, s4, v2
	v_fma_f16 v57, v4, s5, v2
	v_add_f16_e32 v2, v46, v47
	v_add_lshl_u32 v43, v21, v23, 2
	v_pack_b32_f16 v23, v41, v54
	v_pack_b32_f16 v24, v49, v44
	v_add_f16_e32 v58, v2, v48
	v_add_f16_e32 v2, v47, v48
	ds_write2_b32 v43, v23, v24 offset1:13
	v_pack_b32_f16 v23, v53, v51
	v_fma_f16 v1, v1, v11, -v61
	v_fma_f16 v2, v2, -0.5, v46
	v_sub_f16_e32 v4, v20, v9
	ds_write_b32 v43, v23 offset:104
	v_mul_u32_u24_e32 v23, 39, v30
	v_fma_f16 v20, v4, s5, v2
	v_fma_f16 v46, v4, s4, v2
	v_add_f16_e32 v2, v1, v3
	v_add_f16_e32 v5, v6, v7
	v_add_u32_sdwa v23, v23, v31 dst_sel:DWORD dst_unused:UNUSED_PAD src0_sel:DWORD src1_sel:BYTE_0
	v_fma_f16 v2, v2, -0.5, v0
	v_sub_f16_e32 v4, v6, v7
	v_fma_f16 v5, v5, -0.5, v22
	v_sub_f16_e32 v19, v1, v3
	v_add_lshl_u32 v44, v21, v23, 2
	v_pack_b32_f16 v23, v55, v58
	v_pack_b32_f16 v20, v56, v20
	v_fma_f16 v9, v4, s5, v2
	v_fma_f16 v45, v19, s4, v5
	ds_write2_b32 v44, v23, v20 offset1:13
	v_pack_b32_f16 v20, v57, v46
	v_mul_u32_u24_e32 v41, 39, v36
	ds_write_b32 v44, v20 offset:104
	s_and_saveexec_b64 s[4:5], s[0:1]
	s_cbranch_execz .LBB0_11
; %bb.10:
	v_mul_f16_e32 v4, 0x3aee, v4
	v_mul_f16_e32 v19, 0x3aee, v19
	v_add_f16_e32 v6, v22, v6
	v_add_f16_e32 v0, v0, v1
	v_sub_f16_e32 v5, v5, v19
	v_add_f16_e32 v6, v6, v7
	v_add_f16_e32 v2, v4, v2
	;; [unrolled: 1-line block ×3, first 2 shown]
	v_add_u32_sdwa v1, v41, v40 dst_sel:DWORD dst_unused:UNUSED_PAD src0_sel:DWORD src1_sel:BYTE_0
	v_add_lshl_u32 v1, v21, v1, 2
	v_pack_b32_f16 v0, v0, v6
	v_pack_b32_f16 v2, v2, v5
	s_mov_b32 s14, 0x5040100
	ds_write2_b32 v1, v0, v2 offset1:13
	v_perm_b32 v0, v45, v9, s14
	ds_write_b32 v1, v0 offset:104
.LBB0_11:
	s_or_b64 exec, exec, s[4:5]
	v_mad_u64_u32 v[21:22], s[2:3], v34, 40, s[2:3]
	s_waitcnt lgkmcnt(0)
	s_barrier
	global_load_dwordx4 v[0:3], v[21:22], off offset:104
	global_load_dwordx4 v[4:7], v[21:22], off offset:120
	global_load_dwordx2 v[19:20], v[21:22], off offset:136
	v_add_u32_e32 v29, 0x400, v38
	ds_read2_b32 v[21:22], v38 offset1:39
	ds_read_b32 v31, v38 offset:312
	ds_read2_b32 v[23:24], v38 offset0:117 offset1:156
	ds_read2_b32 v[25:26], v38 offset0:195 offset1:234
	;; [unrolled: 1-line block ×4, first 2 shown]
	s_waitcnt lgkmcnt(5)
	v_lshrrev_b32_e32 v32, 16, v22
	s_waitcnt lgkmcnt(4)
	v_lshrrev_b32_e32 v36, 16, v31
	;; [unrolled: 2-line block ×3, first 2 shown]
	v_lshrrev_b32_e32 v47, 16, v24
	s_waitcnt lgkmcnt(0)
	v_lshrrev_b32_e32 v53, 16, v30
	v_lshrrev_b32_e32 v48, 16, v25
	;; [unrolled: 1-line block ×6, first 2 shown]
	s_movk_i32 s2, 0x3abb
	s_movk_i32 s3, 0x36a6
	s_mov_b32 s4, 0xb08e
	s_mov_b32 s5, 0xb93d
	;; [unrolled: 1-line block ×3, first 2 shown]
	s_waitcnt vmcnt(2)
	v_mul_f16_sdwa v54, v32, v0 dst_sel:DWORD dst_unused:UNUSED_PAD src0_sel:DWORD src1_sel:WORD_1
	v_mul_f16_sdwa v55, v22, v0 dst_sel:DWORD dst_unused:UNUSED_PAD src0_sel:DWORD src1_sel:WORD_1
	;; [unrolled: 1-line block ×4, first 2 shown]
	v_fma_f16 v22, v22, v0, -v54
	v_mul_f16_sdwa v57, v31, v1 dst_sel:DWORD dst_unused:UNUSED_PAD src0_sel:DWORD src1_sel:WORD_1
	v_mul_f16_sdwa v58, v46, v2 dst_sel:DWORD dst_unused:UNUSED_PAD src0_sel:DWORD src1_sel:WORD_1
	v_mul_f16_sdwa v61, v24, v3 dst_sel:DWORD dst_unused:UNUSED_PAD src0_sel:DWORD src1_sel:WORD_1
	s_waitcnt vmcnt(0)
	v_mul_f16_sdwa v73, v30, v20 dst_sel:DWORD dst_unused:UNUSED_PAD src0_sel:DWORD src1_sel:WORD_1
	v_fma_f16 v32, v32, v0, v55
	v_fma_f16 v31, v31, v1, -v56
	v_fma_f16 v54, v46, v2, v59
	v_add_f16_e32 v46, v21, v22
	v_mul_f16_sdwa v60, v47, v3 dst_sel:DWORD dst_unused:UNUSED_PAD src0_sel:DWORD src1_sel:WORD_1
	v_mul_f16_sdwa v72, v53, v20 dst_sel:DWORD dst_unused:UNUSED_PAD src0_sel:DWORD src1_sel:WORD_1
	v_fma_f16 v36, v36, v1, v57
	v_fma_f16 v23, v23, v2, -v58
	v_fma_f16 v55, v47, v3, v61
	v_fma_f16 v47, v53, v20, v73
	v_add_f16_sdwa v53, v21, v32 dst_sel:DWORD dst_unused:UNUSED_PAD src0_sel:WORD_1 src1_sel:DWORD
	v_add_f16_e32 v46, v46, v31
	v_mul_f16_sdwa v62, v48, v4 dst_sel:DWORD dst_unused:UNUSED_PAD src0_sel:DWORD src1_sel:WORD_1
	v_fma_f16 v24, v24, v3, -v60
	v_add_f16_e32 v53, v53, v36
	v_add_f16_e32 v46, v46, v23
	v_mul_f16_sdwa v63, v25, v4 dst_sel:DWORD dst_unused:UNUSED_PAD src0_sel:DWORD src1_sel:WORD_1
	v_mul_f16_sdwa v64, v49, v5 dst_sel:DWORD dst_unused:UNUSED_PAD src0_sel:DWORD src1_sel:WORD_1
	v_fma_f16 v25, v25, v4, -v62
	v_add_f16_e32 v53, v53, v54
	v_add_f16_e32 v46, v46, v24
	v_mul_f16_sdwa v65, v26, v5 dst_sel:DWORD dst_unused:UNUSED_PAD src0_sel:DWORD src1_sel:WORD_1
	v_mul_f16_sdwa v66, v50, v6 dst_sel:DWORD dst_unused:UNUSED_PAD src0_sel:DWORD src1_sel:WORD_1
	v_fma_f16 v48, v48, v4, v63
	v_fma_f16 v26, v26, v5, -v64
	v_add_f16_e32 v53, v53, v55
	v_add_f16_e32 v46, v46, v25
	v_mul_f16_sdwa v67, v27, v6 dst_sel:DWORD dst_unused:UNUSED_PAD src0_sel:DWORD src1_sel:WORD_1
	v_mul_f16_sdwa v68, v51, v7 dst_sel:DWORD dst_unused:UNUSED_PAD src0_sel:DWORD src1_sel:WORD_1
	v_fma_f16 v49, v49, v5, v65
	v_fma_f16 v27, v27, v6, -v66
	v_add_f16_e32 v53, v53, v48
	v_add_f16_e32 v46, v46, v26
	v_mul_f16_sdwa v69, v28, v7 dst_sel:DWORD dst_unused:UNUSED_PAD src0_sel:DWORD src1_sel:WORD_1
	v_mul_f16_sdwa v70, v52, v19 dst_sel:DWORD dst_unused:UNUSED_PAD src0_sel:DWORD src1_sel:WORD_1
	v_fma_f16 v50, v50, v6, v67
	v_fma_f16 v28, v28, v7, -v68
	v_add_f16_e32 v53, v53, v49
	v_add_f16_e32 v46, v46, v27
	v_mul_f16_sdwa v71, v29, v19 dst_sel:DWORD dst_unused:UNUSED_PAD src0_sel:DWORD src1_sel:WORD_1
	v_fma_f16 v51, v51, v7, v69
	v_fma_f16 v29, v29, v19, -v70
	v_fma_f16 v30, v30, v20, -v72
	v_add_f16_e32 v57, v32, v47
	v_sub_f16_e32 v32, v32, v47
	v_add_f16_e32 v53, v53, v50
	v_add_f16_e32 v46, v46, v28
	v_fma_f16 v52, v52, v19, v71
	v_add_f16_e32 v56, v22, v30
	v_sub_f16_e32 v22, v22, v30
	v_mul_f16_e32 v58, 0xb853, v32
	v_add_f16_e32 v53, v53, v51
	v_add_f16_e32 v46, v46, v29
	v_mul_f16_e32 v59, 0xb853, v22
	v_fma_f16 v60, v56, s2, -v58
	v_add_f16_e32 v53, v53, v52
	v_add_f16_e32 v46, v46, v30
	v_fma_f16 v30, v56, s2, v58
	v_mul_f16_e32 v58, 0xbb47, v32
	v_mul_f16_e32 v62, 0xbb47, v22
	;; [unrolled: 1-line block ×8, first 2 shown]
	v_fma_f16 v61, v57, s2, v59
	v_add_f16_e32 v47, v53, v47
	v_fma_f16 v53, v57, s2, -v59
	v_fma_f16 v59, v56, s3, -v58
	v_fma_f16 v63, v57, s3, v62
	v_fma_f16 v58, v56, s3, v58
	v_fma_f16 v62, v57, s3, -v62
	v_fma_f16 v65, v56, s4, -v64
	v_fma_f16 v67, v57, s4, v66
	v_fma_f16 v64, v56, s4, v64
	v_fma_f16 v66, v57, s4, -v66
	v_fma_f16 v69, v56, s5, -v68
	v_fma_f16 v71, v57, s5, v70
	v_fma_f16 v68, v56, s5, v68
	v_fma_f16 v70, v57, s5, -v70
	v_fma_f16 v72, v56, s14, -v32
	v_fma_f16 v73, v57, s14, v22
	v_fma_f16 v32, v56, s14, v32
	v_fma_f16 v22, v57, s14, -v22
	v_add_f16_e32 v60, v21, v60
	v_add_f16_sdwa v61, v21, v61 dst_sel:DWORD dst_unused:UNUSED_PAD src0_sel:WORD_1 src1_sel:DWORD
	v_add_f16_e32 v30, v21, v30
	v_add_f16_sdwa v53, v21, v53 dst_sel:DWORD dst_unused:UNUSED_PAD src0_sel:WORD_1 src1_sel:DWORD
	;; [unrolled: 2-line block ×10, first 2 shown]
	v_add_f16_e32 v22, v31, v29
	v_sub_f16_e32 v29, v31, v29
	v_sub_f16_e32 v31, v36, v52
	v_add_f16_e32 v56, v36, v52
	v_mul_f16_e32 v36, 0xbb47, v31
	v_fma_f16 v52, v22, s3, -v36
	v_mul_f16_e32 v57, 0xbb47, v29
	v_fma_f16 v36, v22, s3, v36
	v_add_f16_e32 v30, v36, v30
	v_fma_f16 v36, v56, s3, -v57
	v_add_f16_e32 v36, v36, v53
	v_mul_f16_e32 v53, 0xba0c, v31
	v_add_f16_e32 v52, v52, v60
	v_fma_f16 v60, v56, s3, v57
	v_fma_f16 v57, v22, s5, -v53
	v_add_f16_e32 v57, v57, v59
	v_mul_f16_e32 v59, 0xba0c, v29
	v_fma_f16 v53, v22, s5, v53
	v_add_f16_e32 v60, v60, v61
	v_fma_f16 v61, v56, s5, v59
	v_add_f16_e32 v53, v53, v58
	v_fma_f16 v58, v56, s5, -v59
	v_mul_f16_e32 v59, 0x3482, v31
	v_add_f16_e32 v61, v61, v63
	v_add_f16_e32 v58, v58, v62
	v_fma_f16 v62, v22, s14, -v59
	v_mul_f16_e32 v63, 0x3482, v29
	v_fma_f16 v59, v22, s14, v59
	v_add_f16_e32 v62, v62, v65
	v_fma_f16 v65, v56, s14, v63
	v_add_f16_e32 v59, v59, v64
	v_fma_f16 v63, v56, s14, -v63
	v_mul_f16_e32 v64, 0x3beb, v31
	v_add_f16_e32 v65, v65, v67
	v_add_f16_e32 v63, v63, v66
	v_fma_f16 v66, v22, s4, -v64
	v_mul_f16_e32 v67, 0x3beb, v29
	v_add_f16_e32 v66, v66, v69
	v_fma_f16 v69, v56, s4, v67
	v_fma_f16 v67, v56, s4, -v67
	v_mul_f16_e32 v29, 0x3853, v29
	v_fma_f16 v64, v22, s4, v64
	v_add_f16_e32 v67, v67, v70
	v_mul_f16_e32 v31, 0x3853, v31
	v_fma_f16 v70, v56, s2, v29
	v_fma_f16 v29, v56, s2, -v29
	v_add_f16_e32 v64, v64, v68
	v_fma_f16 v68, v22, s2, -v31
	v_fma_f16 v22, v22, s2, v31
	v_add_f16_e32 v21, v29, v21
	v_add_f16_e32 v29, v23, v28
	v_sub_f16_e32 v23, v23, v28
	v_sub_f16_e32 v28, v54, v51
	v_add_f16_e32 v22, v22, v32
	v_mul_f16_e32 v32, 0xbbeb, v28
	v_add_f16_e32 v31, v54, v51
	v_fma_f16 v51, v29, s4, -v32
	v_add_f16_e32 v51, v51, v52
	v_mul_f16_e32 v52, 0xbbeb, v23
	v_fma_f16 v32, v29, s4, v32
	v_add_f16_e32 v30, v32, v30
	v_fma_f16 v32, v31, s4, -v52
	v_add_f16_e32 v32, v32, v36
	v_mul_f16_e32 v36, 0x3482, v28
	v_fma_f16 v54, v31, s4, v52
	v_fma_f16 v52, v29, s14, -v36
	v_mul_f16_e32 v56, 0x3482, v23
	v_fma_f16 v36, v29, s14, v36
	v_add_f16_e32 v52, v52, v57
	v_fma_f16 v57, v31, s14, v56
	v_add_f16_e32 v36, v36, v53
	v_fma_f16 v53, v31, s14, -v56
	v_mul_f16_e32 v56, 0x3b47, v28
	v_add_f16_e32 v54, v54, v60
	v_add_f16_e32 v53, v53, v58
	v_fma_f16 v58, v29, s3, -v56
	v_mul_f16_e32 v60, 0x3b47, v23
	v_fma_f16 v56, v29, s3, v56
	v_add_f16_e32 v57, v57, v61
	v_fma_f16 v61, v31, s3, v60
	v_add_f16_e32 v56, v56, v59
	v_fma_f16 v59, v31, s3, -v60
	v_mul_f16_e32 v60, 0xb853, v28
	v_add_f16_e32 v58, v58, v62
	v_add_f16_e32 v59, v59, v63
	v_fma_f16 v62, v29, s2, -v60
	v_mul_f16_e32 v63, 0xb853, v23
	v_mul_f16_e32 v23, 0xba0c, v23
	v_add_f16_e32 v62, v62, v66
	v_fma_f16 v66, v31, s5, v23
	v_fma_f16 v23, v31, s5, -v23
	v_fma_f16 v60, v29, s2, v60
	v_mul_f16_e32 v28, 0xba0c, v28
	v_add_f16_e32 v21, v23, v21
	v_add_f16_e32 v23, v24, v27
	v_sub_f16_e32 v24, v24, v27
	v_sub_f16_e32 v27, v55, v50
	v_add_f16_e32 v60, v60, v64
	v_fma_f16 v64, v29, s5, -v28
	v_fma_f16 v28, v29, s5, v28
	v_mul_f16_e32 v29, 0xba0c, v27
	v_add_f16_e32 v61, v61, v65
	v_fma_f16 v65, v31, s2, v63
	v_fma_f16 v63, v31, s2, -v63
	v_add_f16_e32 v22, v28, v22
	v_add_f16_e32 v28, v55, v50
	v_fma_f16 v31, v23, s5, -v29
	v_mul_f16_e32 v50, 0xba0c, v24
	v_fma_f16 v29, v23, s5, v29
	v_add_f16_e32 v29, v29, v30
	v_fma_f16 v30, v28, s5, -v50
	v_add_f16_e32 v30, v30, v32
	v_mul_f16_e32 v32, 0x3beb, v27
	v_add_f16_e32 v31, v31, v51
	v_fma_f16 v51, v28, s5, v50
	v_fma_f16 v50, v23, s4, -v32
	v_add_f16_e32 v50, v50, v52
	v_mul_f16_e32 v52, 0x3beb, v24
	v_fma_f16 v32, v23, s4, v32
	v_add_f16_e32 v51, v51, v54
	v_fma_f16 v54, v28, s4, v52
	v_add_f16_e32 v32, v32, v36
	v_fma_f16 v36, v28, s4, -v52
	v_mul_f16_e32 v52, 0xb853, v27
	v_add_f16_e32 v36, v36, v53
	v_fma_f16 v53, v23, s2, -v52
	v_add_f16_e32 v55, v53, v58
	v_mul_f16_e32 v53, 0xb853, v24
	v_add_f16_e32 v54, v54, v57
	v_fma_f16 v57, v28, s2, v53
	v_fma_f16 v52, v23, s2, v52
	v_fma_f16 v53, v28, s2, -v53
	v_add_f16_e32 v52, v52, v56
	v_add_f16_e32 v56, v53, v59
	v_mul_f16_e32 v53, 0xb482, v27
	v_fma_f16 v58, v23, s14, -v53
	v_mul_f16_e32 v59, 0xb482, v24
	v_fma_f16 v53, v23, s14, v53
	v_add_f16_e32 v68, v68, v72
	v_add_f16_e32 v63, v63, v67
	;; [unrolled: 1-line block ×3, first 2 shown]
	v_fma_f16 v53, v28, s14, -v59
	v_mul_f16_e32 v27, 0x3b47, v27
	v_add_f16_e32 v69, v69, v71
	v_add_f16_e32 v70, v70, v73
	;; [unrolled: 1-line block ×4, first 2 shown]
	v_fma_f16 v61, v28, s14, v59
	v_add_f16_e32 v59, v53, v63
	v_fma_f16 v53, v23, s3, -v27
	v_mul_f16_e32 v24, 0x3b47, v24
	v_fma_f16 v23, v23, s3, v27
	v_add_f16_e32 v65, v65, v69
	v_add_f16_e32 v66, v66, v70
	;; [unrolled: 1-line block ×4, first 2 shown]
	v_fma_f16 v53, v28, s3, v24
	v_add_f16_e32 v64, v23, v22
	v_fma_f16 v22, v28, s3, -v24
	v_sub_f16_e32 v68, v25, v26
	v_sub_f16_e32 v69, v48, v49
	v_add_f16_e32 v61, v61, v65
	v_add_f16_e32 v63, v53, v66
	;; [unrolled: 1-line block ×5, first 2 shown]
	v_mul_f16_e32 v22, 0xb482, v69
	v_mul_f16_e32 v23, 0xb482, v68
	v_fma_f16 v21, v66, s14, -v22
	v_fma_f16 v24, v67, s14, v23
	v_fma_f16 v22, v66, s14, v22
	v_add_f16_e32 v48, v24, v51
	v_add_f16_e32 v26, v22, v29
	v_fma_f16 v22, v67, s14, -v23
	v_mul_f16_e32 v23, 0x3853, v69
	v_mul_f16_e32 v24, 0x3853, v68
	v_add_f16_e32 v51, v22, v30
	v_fma_f16 v22, v66, s2, -v23
	v_fma_f16 v25, v67, s2, v24
	v_fma_f16 v23, v66, s2, v23
	v_add_f16_e32 v49, v25, v54
	v_add_f16_e32 v25, v23, v32
	v_fma_f16 v23, v67, s2, -v24
	v_mul_f16_e32 v24, 0xba0c, v69
	v_mul_f16_e32 v27, 0xba0c, v68
	v_add_f16_e32 v21, v21, v31
	v_add_f16_e32 v53, v23, v36
	v_fma_f16 v23, v66, s5, -v24
	v_fma_f16 v28, v67, s5, v27
	v_fma_f16 v24, v66, s5, v24
	v_mul_f16_e32 v29, 0x3b47, v68
	v_mul_f16_e32 v31, 0xbbeb, v68
	v_add_f16_e32 v22, v22, v50
	v_add_f16_e32 v50, v28, v57
	;; [unrolled: 1-line block ×3, first 2 shown]
	v_fma_f16 v24, v67, s5, -v27
	v_mul_f16_e32 v27, 0x3b47, v69
	v_fma_f16 v30, v67, s3, v29
	v_fma_f16 v32, v67, s4, v31
	v_fma_f16 v31, v67, s4, -v31
	v_add_f16_e32 v23, v23, v55
	v_add_f16_e32 v55, v24, v56
	v_fma_f16 v24, v66, s3, -v27
	v_add_f16_e32 v52, v30, v61
	v_fma_f16 v29, v67, s3, -v29
	v_mul_f16_e32 v30, 0xbbeb, v69
	v_add_f16_e32 v57, v31, v65
	v_lshl_add_u32 v36, v34, 2, v35
	v_pack_b32_f16 v31, v46, v47
	v_add_f16_e32 v24, v24, v58
	v_add_f16_e32 v56, v29, v59
	v_fma_f16 v29, v66, s4, -v30
	v_add_f16_e32 v54, v32, v63
	v_fma_f16 v30, v66, s4, v30
	ds_write_b32 v36, v31
	v_pack_b32_f16 v31, v21, v48
	v_pack_b32_f16 v32, v22, v49
	v_fma_f16 v27, v66, s3, v27
	v_add_f16_e32 v29, v29, v62
	v_add_f16_e32 v30, v30, v64
	ds_write2_b32 v36, v31, v32 offset0:39 offset1:78
	v_pack_b32_f16 v31, v23, v50
	v_pack_b32_f16 v32, v24, v52
	v_add_f16_e32 v27, v27, v60
	ds_write2_b32 v36, v31, v32 offset0:117 offset1:156
	v_pack_b32_f16 v31, v29, v54
	v_pack_b32_f16 v32, v30, v57
	ds_write2_b32 v36, v31, v32 offset0:195 offset1:234
	v_pack_b32_f16 v32, v27, v56
	v_pack_b32_f16 v58, v28, v55
	v_add_u32_e32 v31, 0x400, v36
	ds_write2_b32 v31, v32, v58 offset0:17 offset1:56
	v_pack_b32_f16 v32, v25, v53
	v_pack_b32_f16 v58, v26, v51
	ds_write2_b32 v31, v32, v58 offset0:95 offset1:134
	s_waitcnt lgkmcnt(0)
	s_barrier
	s_and_saveexec_b64 s[2:3], vcc
	s_cbranch_execz .LBB0_13
; %bb.12:
	global_load_dword v32, v33, s[6:7] offset:1716
	s_add_u32 s4, s6, 0x6b4
	s_addc_u32 s5, s7, 0
	global_load_dword v70, v33, s[4:5] offset:132
	global_load_dword v71, v33, s[4:5] offset:264
	;; [unrolled: 1-line block ×10, first 2 shown]
	ds_read_b32 v58, v36
	global_load_dword v81, v33, s[4:5] offset:1452
	global_load_dword v82, v33, s[4:5] offset:1584
	v_add_u32_e32 v80, 0x200, v36
	s_waitcnt lgkmcnt(0)
	v_lshrrev_b32_e32 v59, 16, v58
	s_waitcnt vmcnt(12)
	v_mul_f16_sdwa v60, v59, v32 dst_sel:DWORD dst_unused:UNUSED_PAD src0_sel:DWORD src1_sel:WORD_1
	v_mul_f16_sdwa v61, v58, v32 dst_sel:DWORD dst_unused:UNUSED_PAD src0_sel:DWORD src1_sel:WORD_1
	v_fma_f16 v58, v58, v32, -v60
	v_fma_f16 v32, v59, v32, v61
	v_pack_b32_f16 v32, v58, v32
	ds_write_b32 v36, v32
	ds_read2_b32 v[58:59], v36 offset0:33 offset1:66
	ds_read2_b32 v[60:61], v36 offset0:99 offset1:132
	;; [unrolled: 1-line block ×6, first 2 shown]
	s_waitcnt lgkmcnt(5)
	v_lshrrev_b32_e32 v32, 16, v58
	s_waitcnt vmcnt(11)
	v_mul_f16_sdwa v83, v58, v70 dst_sel:DWORD dst_unused:UNUSED_PAD src0_sel:DWORD src1_sel:WORD_1
	v_lshrrev_b32_e32 v84, 16, v59
	s_waitcnt vmcnt(10)
	v_mul_f16_sdwa v85, v59, v71 dst_sel:DWORD dst_unused:UNUSED_PAD src0_sel:DWORD src1_sel:WORD_1
	s_waitcnt lgkmcnt(4)
	v_lshrrev_b32_e32 v86, 16, v60
	s_waitcnt vmcnt(9)
	v_mul_f16_sdwa v87, v60, v72 dst_sel:DWORD dst_unused:UNUSED_PAD src0_sel:DWORD src1_sel:WORD_1
	v_lshrrev_b32_e32 v88, 16, v61
	s_waitcnt vmcnt(8)
	v_mul_f16_sdwa v89, v61, v73 dst_sel:DWORD dst_unused:UNUSED_PAD src0_sel:DWORD src1_sel:WORD_1
	;; [unrolled: 7-line block ×4, first 2 shown]
	s_waitcnt lgkmcnt(1)
	v_lshrrev_b32_e32 v98, 16, v66
	s_waitcnt vmcnt(3)
	v_mul_f16_sdwa v99, v66, v78 dst_sel:DWORD dst_unused:UNUSED_PAD src0_sel:DWORD src1_sel:WORD_1
	v_lshrrev_b32_e32 v100, 16, v67
	v_mul_f16_sdwa v102, v32, v70 dst_sel:DWORD dst_unused:UNUSED_PAD src0_sel:DWORD src1_sel:WORD_1
	v_fma_f16 v32, v32, v70, v83
	v_mul_f16_sdwa v83, v84, v71 dst_sel:DWORD dst_unused:UNUSED_PAD src0_sel:DWORD src1_sel:WORD_1
	s_waitcnt vmcnt(2)
	v_mul_f16_sdwa v101, v67, v79 dst_sel:DWORD dst_unused:UNUSED_PAD src0_sel:DWORD src1_sel:WORD_1
	v_fma_f16 v84, v84, v71, v85
	v_mul_f16_sdwa v85, v86, v72 dst_sel:DWORD dst_unused:UNUSED_PAD src0_sel:DWORD src1_sel:WORD_1
	v_fma_f16 v86, v86, v72, v87
	;; [unrolled: 2-line block ×8, first 2 shown]
	v_mul_f16_sdwa v99, v100, v79 dst_sel:DWORD dst_unused:UNUSED_PAD src0_sel:DWORD src1_sel:WORD_1
	v_fma_f16 v58, v58, v70, -v102
	v_fma_f16 v59, v59, v71, -v83
	v_fma_f16 v100, v100, v79, v101
	v_fma_f16 v60, v60, v72, -v85
	v_fma_f16 v61, v61, v73, -v87
	v_fma_f16 v62, v62, v74, -v89
	v_fma_f16 v63, v63, v75, -v91
	v_fma_f16 v64, v64, v76, -v93
	v_fma_f16 v65, v65, v77, -v95
	v_fma_f16 v66, v66, v78, -v97
	v_fma_f16 v67, v67, v79, -v99
	v_pack_b32_f16 v32, v58, v32
	v_pack_b32_f16 v58, v59, v84
	;; [unrolled: 1-line block ×10, first 2 shown]
	ds_write2_b32 v36, v32, v58 offset0:33 offset1:66
	ds_write2_b32 v36, v59, v60 offset0:99 offset1:132
	;; [unrolled: 1-line block ×5, first 2 shown]
	s_waitcnt lgkmcnt(5)
	v_lshrrev_b32_e32 v32, 16, v68
	s_waitcnt vmcnt(1)
	v_mul_f16_sdwa v58, v32, v81 dst_sel:DWORD dst_unused:UNUSED_PAD src0_sel:DWORD src1_sel:WORD_1
	v_mul_f16_sdwa v59, v68, v81 dst_sel:DWORD dst_unused:UNUSED_PAD src0_sel:DWORD src1_sel:WORD_1
	v_fma_f16 v58, v68, v81, -v58
	v_fma_f16 v32, v32, v81, v59
	v_pack_b32_f16 v32, v58, v32
	v_lshrrev_b32_e32 v58, 16, v69
	s_waitcnt vmcnt(0)
	v_mul_f16_sdwa v59, v58, v82 dst_sel:DWORD dst_unused:UNUSED_PAD src0_sel:DWORD src1_sel:WORD_1
	v_mul_f16_sdwa v60, v69, v82 dst_sel:DWORD dst_unused:UNUSED_PAD src0_sel:DWORD src1_sel:WORD_1
	v_fma_f16 v59, v69, v82, -v59
	v_fma_f16 v58, v58, v82, v60
	v_pack_b32_f16 v58, v59, v58
	ds_write2_b32 v31, v32, v58 offset0:107 offset1:140
.LBB0_13:
	s_or_b64 exec, exec, s[2:3]
	s_waitcnt lgkmcnt(0)
	s_barrier
	s_and_saveexec_b64 s[2:3], vcc
	s_cbranch_execz .LBB0_15
; %bb.14:
	v_add_u32_e32 v9, 0x200, v36
	ds_read_b32 v46, v36
	ds_read2_b32 v[21:22], v36 offset0:33 offset1:66
	ds_read2_b32 v[23:24], v36 offset0:99 offset1:132
	;; [unrolled: 1-line block ×4, first 2 shown]
	v_add_u32_e32 v9, 0x400, v36
	ds_read2_b32 v[25:26], v9 offset0:41 offset1:74
	ds_read2_b32 v[9:10], v9 offset0:107 offset1:140
	s_waitcnt lgkmcnt(6)
	v_lshrrev_b32_e32 v47, 16, v46
	s_waitcnt lgkmcnt(5)
	v_lshrrev_b32_e32 v48, 16, v21
	v_lshrrev_b32_e32 v49, 16, v22
	s_waitcnt lgkmcnt(4)
	v_lshrrev_b32_e32 v50, 16, v23
	;; [unrolled: 3-line block ×6, first 2 shown]
	v_lshrrev_b32_e32 v39, 16, v10
.LBB0_15:
	s_or_b64 exec, exec, s[2:3]
	v_sub_f16_e32 v71, v48, v39
	v_add_f16_e32 v62, v10, v21
	v_add_f16_e32 v74, v39, v48
	s_movk_i32 s4, 0x388b
	v_mul_f16_e32 v77, 0xba95, v71
	v_sub_f16_e32 v76, v49, v45
	v_sub_f16_e32 v63, v21, v10
	s_mov_b32 s15, 0xba95
	v_mul_f16_e32 v79, 0x388b, v74
	v_fma_f16 v31, v62, s4, -v77
	s_mov_b32 s14, 0xb5ac
	v_add_f16_e32 v64, v9, v22
	v_add_f16_e32 v78, v45, v49
	v_mul_f16_e32 v81, 0xbb7b, v76
	v_add_f16_e32 v31, v46, v31
	v_fma_f16 v32, v63, s15, v79
	s_movk_i32 s5, 0x2fb7
	v_mul_f16_e32 v85, 0xbbf1, v71
	v_sub_f16_e32 v65, v22, v9
	v_mul_f16_e32 v83, 0xb5ac, v78
	v_fma_f16 v66, v64, s14, -v81
	v_add_f16_e32 v32, v47, v32
	s_mov_b32 s16, 0xbbf1
	v_mul_f16_e32 v93, 0x2fb7, v74
	v_fma_f16 v58, v62, s5, -v85
	v_add_f16_e32 v31, v66, v31
	v_fma_f16 v66, v65, s17, v83
	v_mul_f16_e32 v90, 0xb3a8, v76
	v_add_f16_e32 v58, v46, v58
	v_fma_f16 v59, v63, s16, v93
	v_mul_f16_e32 v102, 0xbb7b, v71
	v_add_f16_e32 v32, v66, v32
	v_mul_f16_e32 v99, 0xbbc4, v78
	v_fma_f16 v66, v64, s18, -v90
	v_add_f16_e32 v59, v47, v59
	v_mul_f16_e32 v109, 0xb5ac, v74
	v_fma_f16 v60, v62, s14, -v102
	v_add_f16_e32 v58, v66, v58
	v_fma_f16 v66, v65, s20, v99
	v_mul_f16_e32 v108, 0x394e, v76
	v_add_f16_e32 v60, v46, v60
	v_fma_f16 v61, v63, s17, v109
	v_add_f16_e32 v59, v66, v59
	s_movk_i32 s26, 0x394e
	v_mul_f16_e32 v113, 0xb9fd, v78
	v_fma_f16 v66, v64, s19, -v108
	v_add_f16_e32 v61, v47, v61
	v_add_f16_e32 v60, v66, v60
	v_fma_f16 v66, v65, s26, v113
	v_sub_f16_e32 v80, v50, v51
	v_add_f16_e32 v61, v66, v61
	v_add_f16_e32 v66, v26, v23
	;; [unrolled: 1-line block ×3, first 2 shown]
	v_mul_f16_e32 v86, 0xb3a8, v80
	v_sub_f16_e32 v67, v23, v26
	v_mul_f16_e32 v89, 0xbbc4, v82
	v_fma_f16 v68, v66, s18, -v86
	v_add_f16_e32 v31, v68, v31
	v_fma_f16 v68, v67, s20, v89
	v_mul_f16_e32 v95, 0x3b7b, v80
	v_add_f16_e32 v32, v68, v32
	s_movk_i32 s27, 0x3b7b
	v_mul_f16_e32 v104, 0xb5ac, v82
	v_fma_f16 v68, v66, s14, -v95
	v_add_f16_e32 v58, v68, v58
	v_fma_f16 v68, v67, s27, v104
	s_movk_i32 s21, 0x3b15
	v_mul_f16_e32 v112, 0x3770, v80
	v_add_f16_e32 v59, v68, v59
	s_movk_i32 s22, 0x3770
	v_mul_f16_e32 v116, 0x3b15, v82
	v_fma_f16 v68, v66, s21, -v112
	v_add_f16_e32 v60, v68, v60
	v_fma_f16 v68, v67, s22, v116
	v_sub_f16_e32 v84, v52, v53
	v_add_f16_e32 v61, v68, v61
	v_add_f16_e32 v68, v25, v24
	;; [unrolled: 1-line block ×3, first 2 shown]
	v_mul_f16_e32 v91, 0x394e, v84
	v_sub_f16_e32 v69, v24, v25
	v_mul_f16_e32 v96, 0xb9fd, v87
	v_fma_f16 v70, v68, s19, -v91
	v_add_f16_e32 v31, v70, v31
	v_fma_f16 v70, v69, s26, v96
	v_mul_f16_e32 v100, 0x3770, v84
	v_add_f16_e32 v32, v70, v32
	v_mul_f16_e32 v107, 0x3b15, v87
	v_fma_f16 v70, v68, s21, -v100
	v_add_f16_e32 v58, v70, v58
	v_fma_f16 v70, v69, s22, v107
	v_mul_f16_e32 v115, 0xbbf1, v84
	v_add_f16_e32 v59, v70, v59
	v_mul_f16_e32 v118, 0x2fb7, v87
	v_fma_f16 v70, v68, s5, -v115
	v_add_f16_e32 v60, v70, v60
	v_fma_f16 v70, v69, s16, v118
	v_sub_f16_e32 v88, v54, v55
	v_add_f16_e32 v61, v70, v61
	v_add_f16_e32 v70, v28, v29
	;; [unrolled: 1-line block ×3, first 2 shown]
	v_mul_f16_e32 v97, 0x3bf1, v88
	v_sub_f16_e32 v72, v29, v28
	s_movk_i32 s23, 0x3bf1
	v_mul_f16_e32 v101, 0x2fb7, v92
	v_fma_f16 v73, v70, s5, -v97
	v_add_f16_e32 v31, v73, v31
	v_fma_f16 v73, v72, s23, v101
	v_mul_f16_e32 v105, 0xba95, v88
	v_add_f16_e32 v110, v73, v32
	v_mul_f16_e32 v111, 0x388b, v92
	v_fma_f16 v32, v70, s4, -v105
	v_add_f16_e32 v58, v32, v58
	v_fma_f16 v32, v72, s15, v111
	v_mul_f16_e32 v117, 0x33a8, v88
	v_add_f16_e32 v119, v32, v59
	s_movk_i32 s25, 0x33a8
	v_mul_f16_e32 v120, 0xbbc4, v92
	v_fma_f16 v32, v70, s18, -v117
	v_sub_f16_e32 v94, v57, v56
	v_add_f16_e32 v60, v32, v60
	v_fma_f16 v32, v72, s25, v120
	v_add_f16_e32 v73, v27, v30
	v_add_f16_e32 v98, v56, v57
	v_mul_f16_e32 v103, 0x3770, v94
	v_add_f16_e32 v122, v32, v61
	v_sub_f16_e32 v75, v30, v27
	v_mul_f16_e32 v106, 0x3b15, v98
	v_fma_f16 v32, v73, s21, -v103
	v_add_f16_e32 v32, v32, v31
	v_fma_f16 v31, v75, s22, v106
	v_add_f16_e32 v59, v31, v110
	v_mul_f16_e32 v110, 0xb94e, v94
	s_mov_b32 s24, 0xb94e
	v_mul_f16_e32 v114, 0xb9fd, v98
	v_fma_f16 v31, v73, s19, -v110
	v_add_f16_e32 v31, v31, v58
	v_fma_f16 v58, v75, s24, v114
	v_add_f16_e32 v61, v58, v119
	v_mul_f16_e32 v119, 0x3a95, v94
	s_movk_i32 s28, 0x3a95
	v_mul_f16_e32 v121, 0x388b, v98
	v_fma_f16 v58, v73, s4, -v119
	v_add_f16_e32 v58, v58, v60
	v_fma_f16 v60, v75, s28, v121
	v_add_f16_e32 v60, v60, v122
	s_barrier
	s_and_saveexec_b64 s[2:3], vcc
	s_cbranch_execz .LBB0_17
; %bb.16:
	v_mul_f16_e32 v122, 0xbbc4, v74
	v_fma_f16 v123, v63, s25, v122
	v_mul_f16_e32 v124, 0x3b15, v78
	s_mov_b32 s29, 0xb770
	v_add_f16_e32 v123, v47, v123
	v_fma_f16 v125, v65, s29, v124
	v_add_f16_e32 v123, v125, v123
	v_mul_f16_e32 v125, 0xb9fd, v82
	v_fma_f16 v126, v67, s26, v125
	v_add_f16_e32 v123, v126, v123
	v_mul_f16_e32 v126, 0x388b, v87
	v_fma_f16 v127, v69, s15, v126
	v_add_f16_e32 v123, v127, v123
	v_mul_f16_e32 v127, 0xb5ac, v92
	v_fma_f16 v128, v72, s27, v127
	v_add_f16_e32 v123, v128, v123
	v_mul_f16_e32 v128, 0x2fb7, v98
	v_fma_f16 v129, v75, s16, v128
	v_add_f16_e32 v123, v129, v123
	v_mul_f16_e32 v129, 0xb3a8, v71
	v_fma_f16 v130, v62, s18, v129
	v_mul_f16_e32 v131, 0x3770, v76
	v_add_f16_e32 v130, v46, v130
	v_fma_f16 v132, v64, s21, v131
	v_add_f16_e32 v130, v132, v130
	v_mul_f16_e32 v132, 0xb94e, v80
	v_fma_f16 v133, v66, s19, v132
	v_add_f16_e32 v130, v133, v130
	v_mul_f16_e32 v133, 0x3a95, v84
	v_fma_f16 v134, v68, s4, v133
	v_add_f16_e32 v130, v134, v130
	v_mul_f16_e32 v134, 0xbb7b, v88
	v_fma_f16 v135, v70, s14, v134
	v_add_f16_e32 v130, v135, v130
	v_mul_f16_e32 v135, 0x3bf1, v94
	v_fma_f16 v136, v73, s5, v135
	v_add_f16_e32 v130, v136, v130
	v_mul_f16_e32 v136, 0xb9fd, v74
	v_fma_f16 v137, v63, s26, v136
	v_mul_f16_e32 v138, 0x2fb7, v78
	;; [unrolled: 18-line block ×3, first 2 shown]
	v_add_f16_e32 v144, v46, v144
	v_fma_f16 v146, v64, s5, v145
	v_add_f16_e32 v144, v146, v144
	v_mul_f16_e32 v146, 0xba95, v80
	v_fma_f16 v147, v66, s4, v146
	v_add_f16_e32 v144, v147, v144
	v_mul_f16_e32 v147, 0x33a8, v84
	;; [unrolled: 3-line block ×4, first 2 shown]
	v_fma_f16 v150, v73, s14, v149
	v_add_f16_e32 v21, v21, v46
	v_add_f16_e32 v144, v150, v144
	v_mul_f16_e32 v150, 0xbb7b, v63
	v_add_f16_e32 v21, v22, v21
	v_sub_f16_e32 v109, v109, v150
	v_mul_f16_e32 v150, 0x394e, v65
	v_add_f16_e32 v21, v23, v21
	v_sub_f16_e32 v113, v113, v150
	v_add_f16_e32 v109, v47, v109
	v_add_f16_e32 v21, v24, v21
	;; [unrolled: 1-line block ×3, first 2 shown]
	v_mul_f16_e32 v113, 0x3770, v67
	v_add_f16_e32 v21, v29, v21
	v_sub_f16_e32 v113, v116, v113
	v_add_f16_e32 v21, v30, v21
	v_add_f16_e32 v109, v113, v109
	v_mul_f16_e32 v113, 0xbbf1, v69
	v_add_f16_e32 v21, v27, v21
	v_sub_f16_e32 v113, v118, v113
	v_add_f16_e32 v21, v28, v21
	v_add_f16_e32 v109, v113, v109
	;; [unrolled: 5-line block ×3, first 2 shown]
	v_mul_f16_e32 v113, 0x3a95, v75
	v_add_f16_e32 v9, v9, v21
	v_fma_f16 v21, v63, s20, v122
	v_sub_f16_e32 v113, v121, v113
	v_add_f16_e32 v21, v47, v21
	v_fma_f16 v22, v65, s22, v124
	v_add_f16_e32 v109, v113, v109
	v_mul_f16_e32 v113, 0xb5ac, v62
	v_add_f16_e32 v21, v22, v21
	v_fma_f16 v22, v67, s24, v125
	v_add_f16_e32 v102, v113, v102
	v_mul_f16_e32 v113, 0xb9fd, v64
	v_add_f16_e32 v21, v22, v21
	v_fma_f16 v22, v69, s28, v126
	v_add_f16_e32 v108, v113, v108
	v_add_f16_e32 v102, v46, v102
	v_mul_f16_e32 v116, 0xbbf1, v63
	v_add_f16_e32 v21, v22, v21
	v_fma_f16 v22, v72, s17, v127
	v_add_f16_e32 v102, v108, v102
	v_mul_f16_e32 v108, 0x3b15, v66
	v_sub_f16_e32 v93, v93, v116
	v_mul_f16_e32 v116, 0xb3a8, v65
	v_add_f16_e32 v21, v22, v21
	v_fma_f16 v22, v75, s23, v128
	v_add_f16_e32 v108, v108, v112
	v_sub_f16_e32 v99, v99, v116
	v_add_f16_e32 v93, v47, v93
	v_add_f16_e32 v21, v22, v21
	v_fma_f16 v22, v62, s18, -v129
	v_add_f16_e32 v102, v108, v102
	v_mul_f16_e32 v108, 0x2fb7, v68
	v_add_f16_e32 v93, v99, v93
	v_mul_f16_e32 v99, 0x3b7b, v67
	v_add_f16_e32 v22, v46, v22
	v_fma_f16 v23, v64, s21, -v131
	v_add_f16_e32 v108, v108, v115
	v_sub_f16_e32 v99, v104, v99
	v_add_f16_e32 v22, v23, v22
	v_fma_f16 v23, v66, s19, -v132
	v_add_f16_e32 v102, v108, v102
	v_mul_f16_e32 v108, 0xbbc4, v70
	v_add_f16_e32 v93, v99, v93
	v_mul_f16_e32 v99, 0x3770, v69
	v_add_f16_e32 v22, v23, v22
	v_fma_f16 v23, v68, s4, -v133
	v_add_f16_e32 v108, v108, v117
	v_sub_f16_e32 v99, v107, v99
	v_add_f16_e32 v22, v23, v22
	v_fma_f16 v23, v70, s14, -v134
	v_add_f16_e32 v102, v108, v102
	v_mul_f16_e32 v108, 0x388b, v73
	v_add_f16_e32 v93, v99, v93
	v_mul_f16_e32 v99, 0xba95, v72
	v_add_f16_e32 v22, v23, v22
	v_fma_f16 v23, v73, s5, -v135
	v_mul_f16_e32 v112, 0x388b, v62
	v_add_f16_e32 v108, v108, v119
	v_sub_f16_e32 v99, v111, v99
	v_add_f16_e32 v22, v23, v22
	v_fma_f16 v23, v63, s24, v136
	v_mul_f16_e32 v113, 0xba95, v63
	v_mul_f16_e32 v115, 0x2fb7, v62
	v_add_f16_e32 v102, v108, v102
	v_mul_f16_e32 v108, 0xb5ac, v64
	v_add_f16_e32 v93, v99, v93
	;; [unrolled: 2-line block ×3, first 2 shown]
	v_add_f16_e32 v23, v47, v23
	v_fma_f16 v24, v65, s23, v138
	v_mul_f16_e32 v116, 0xbb7b, v65
	v_mul_f16_e32 v104, 0xbbc4, v64
	;; [unrolled: 1-line block ×3, first 2 shown]
	v_sub_f16_e32 v99, v114, v99
	v_add_f16_e32 v85, v115, v85
	v_sub_f16_e32 v79, v79, v113
	v_add_f16_e32 v77, v46, v77
	v_add_f16_e32 v81, v108, v81
	;; [unrolled: 1-line block ×3, first 2 shown]
	v_fma_f16 v24, v67, s15, v139
	v_mul_f16_e32 v111, 0xb3a8, v67
	v_mul_f16_e32 v114, 0xb5ac, v66
	v_add_f16_e32 v93, v99, v93
	v_mul_f16_e32 v99, 0xb9fd, v68
	v_add_f16_e32 v90, v104, v90
	v_add_f16_e32 v85, v46, v85
	;; [unrolled: 1-line block ×3, first 2 shown]
	v_sub_f16_e32 v83, v83, v116
	v_add_f16_e32 v77, v81, v77
	v_add_f16_e32 v81, v107, v86
	;; [unrolled: 1-line block ×3, first 2 shown]
	v_fma_f16 v24, v69, s25, v140
	v_mul_f16_e32 v115, 0x394e, v69
	v_mul_f16_e32 v104, 0x3b15, v68
	v_add_f16_e32 v85, v90, v85
	v_mul_f16_e32 v90, 0x2fb7, v70
	v_add_f16_e32 v95, v114, v95
	v_add_f16_e32 v79, v83, v79
	v_sub_f16_e32 v83, v89, v111
	v_add_f16_e32 v77, v81, v77
	v_add_f16_e32 v81, v99, v91
	;; [unrolled: 1-line block ×3, first 2 shown]
	v_fma_f16 v24, v72, s22, v141
	v_mul_f16_e32 v114, 0x3bf1, v72
	v_add_f16_e32 v85, v95, v85
	v_add_f16_e32 v100, v104, v100
	v_mul_f16_e32 v104, 0x3b15, v73
	v_add_f16_e32 v79, v83, v79
	v_sub_f16_e32 v83, v96, v115
	v_add_f16_e32 v77, v81, v77
	v_add_f16_e32 v81, v90, v97
	;; [unrolled: 1-line block ×3, first 2 shown]
	v_fma_f16 v24, v75, s17, v142
	v_add_f16_e32 v85, v100, v85
	v_mul_f16_e32 v100, 0x3770, v75
	v_add_f16_e32 v79, v83, v79
	v_sub_f16_e32 v83, v101, v114
	v_add_f16_e32 v77, v81, v77
	v_add_f16_e32 v81, v104, v103
	v_mul_f16_e32 v74, 0x3b15, v74
	v_add_f16_e32 v23, v24, v23
	v_fma_f16 v24, v62, s19, -v143
	v_add_f16_e32 v79, v83, v79
	v_sub_f16_e32 v83, v106, v100
	v_add_f16_e32 v77, v81, v77
	v_fma_f16 v81, v63, s22, v74
	v_mul_f16_e32 v78, 0x388b, v78
	v_add_f16_e32 v24, v46, v24
	v_fma_f16 v25, v64, s5, -v145
	v_add_f16_e32 v79, v83, v79
	v_add_f16_e32 v81, v47, v81
	v_fma_f16 v83, v65, s28, v78
	v_mul_f16_e32 v82, 0x2fb7, v82
	v_add_f16_e32 v24, v25, v24
	v_fma_f16 v25, v66, s4, -v146
	v_add_f16_e32 v81, v83, v81
	v_fma_f16 v83, v67, s23, v82
	v_add_f16_e32 v24, v25, v24
	v_fma_f16 v25, v68, s18, -v147
	v_add_f16_e32 v81, v83, v81
	v_mul_f16_e32 v83, 0xb5ac, v87
	v_add_f16_e32 v24, v25, v24
	v_fma_f16 v25, v70, s21, -v148
	v_fma_f16 v86, v69, s27, v83
	v_add_f16_e32 v24, v25, v24
	v_fma_f16 v25, v73, s14, -v149
	v_add_f16_e32 v81, v86, v81
	v_mul_f16_e32 v86, 0xb9fd, v92
	v_add_f16_e32 v9, v10, v9
	v_add_f16_e32 v10, v48, v47
	;; [unrolled: 1-line block ×3, first 2 shown]
	v_fma_f16 v25, v63, s29, v74
	v_fma_f16 v87, v72, s26, v86
	v_add_f16_e32 v10, v49, v10
	v_add_f16_e32 v25, v47, v25
	v_fma_f16 v26, v65, s15, v78
	v_add_f16_e32 v81, v87, v81
	v_mul_f16_e32 v87, 0xbbc4, v98
	v_add_f16_e32 v10, v50, v10
	v_add_f16_e32 v25, v26, v25
	v_fma_f16 v26, v67, s16, v82
	v_fma_f16 v89, v75, s25, v87
	v_mul_f16_e32 v71, 0xb770, v71
	v_add_f16_e32 v10, v52, v10
	v_add_f16_e32 v25, v26, v25
	v_fma_f16 v26, v69, s17, v83
	v_add_f16_e32 v81, v89, v81
	v_fma_f16 v89, v62, s21, v71
	v_mul_f16_e32 v76, 0xba95, v76
	v_add_f16_e32 v10, v54, v10
	v_add_f16_e32 v25, v26, v25
	v_fma_f16 v26, v72, s24, v86
	v_add_f16_e32 v89, v46, v89
	;; [unrolled: 6-line block ×3, first 2 shown]
	v_fma_f16 v90, v66, s5, v80
	v_mul_f16_e32 v84, 0xbb7b, v84
	v_add_f16_e32 v10, v56, v10
	v_add_f16_e32 v25, v26, v25
	v_fma_f16 v26, v62, s21, -v71
	v_add_f16_e32 v89, v90, v89
	v_fma_f16 v90, v68, s14, v84
	v_mul_f16_e32 v88, 0xb94e, v88
	v_add_f16_e32 v10, v55, v10
	v_add_f16_e32 v26, v46, v26
	v_fma_f16 v27, v64, s4, -v76
	v_add_f16_e32 v89, v90, v89
	v_fma_f16 v90, v70, s19, v88
	v_add_f16_e32 v10, v53, v10
	v_add_f16_e32 v26, v27, v26
	v_fma_f16 v27, v66, s5, -v80
	v_mul_f16_e32 v95, 0x388b, v70
	v_add_f16_e32 v89, v90, v89
	v_mul_f16_e32 v90, 0xb3a8, v94
	v_add_f16_e32 v10, v51, v10
	v_add_f16_e32 v26, v27, v26
	v_fma_f16 v27, v68, s14, -v84
	v_add_f16_e32 v95, v95, v105
	v_mul_f16_e32 v105, 0xb9fd, v73
	v_fma_f16 v91, v73, s18, v90
	v_add_f16_e32 v10, v45, v10
	v_add_f16_e32 v26, v27, v26
	v_fma_f16 v27, v70, s19, -v88
	v_add_f16_e32 v85, v95, v85
	v_add_f16_e32 v95, v105, v110
	;; [unrolled: 1-line block ×5, first 2 shown]
	v_fma_f16 v27, v73, s18, -v90
	v_add_f16_e32 v85, v95, v85
	v_add_f16_e32 v26, v27, v26
	v_lshl_add_u32 v27, v37, 2, v35
	v_pack_b32_f16 v28, v89, v81
	v_pack_b32_f16 v9, v9, v10
	ds_write2_b32 v27, v9, v28 offset1:1
	v_pack_b32_f16 v9, v85, v93
	v_pack_b32_f16 v10, v77, v79
	ds_write2_b32 v27, v10, v9 offset0:2 offset1:3
	v_pack_b32_f16 v9, v102, v109
	v_pack_b32_f16 v10, v144, v137
	ds_write2_b32 v27, v9, v10 offset0:4 offset1:5
	v_pack_b32_f16 v9, v22, v21
	v_pack_b32_f16 v10, v130, v123
	s_mov_b32 s4, 0x5040100
	ds_write2_b32 v27, v10, v9 offset0:6 offset1:7
	v_pack_b32_f16 v9, v24, v23
	v_perm_b32 v10, v60, v58, s4
	ds_write2_b32 v27, v9, v10 offset0:8 offset1:9
	v_perm_b32 v9, v59, v32, s4
	v_perm_b32 v10, v61, v31, s4
	ds_write2_b32 v27, v10, v9 offset0:10 offset1:11
	v_pack_b32_f16 v9, v26, v25
	ds_write_b32 v27, v9 offset:48
.LBB0_17:
	s_or_b64 exec, exec, s[2:3]
	v_add_u32_e32 v28, 0x400, v38
	s_waitcnt lgkmcnt(0)
	s_barrier
	ds_read2_b32 v[21:22], v38 offset1:39
	ds_read2_b32 v[9:10], v38 offset0:78 offset1:143
	ds_read2_b32 v[25:26], v28 offset0:30 offset1:69
	;; [unrolled: 1-line block ×3, first 2 shown]
	ds_read_b32 v27, v38 offset:1456
	s_and_saveexec_b64 s[2:3], s[0:1]
	s_cbranch_execz .LBB0_19
; %bb.18:
	ds_read_b32 v58, v38 offset:468
	ds_read2_b32 v[31:32], v28 offset0:4 offset1:147
	s_waitcnt lgkmcnt(1)
	v_lshrrev_b32_e32 v60, 16, v58
	s_waitcnt lgkmcnt(0)
	v_lshrrev_b32_e32 v61, 16, v31
	v_lshrrev_b32_e32 v59, 16, v32
.LBB0_19:
	s_or_b64 exec, exec, s[2:3]
	s_waitcnt lgkmcnt(3)
	v_lshrrev_b32_e32 v29, 16, v10
	v_mul_f16_sdwa v49, v15, v29 dst_sel:DWORD dst_unused:UNUSED_PAD src0_sel:WORD_1 src1_sel:DWORD
	s_waitcnt lgkmcnt(2)
	v_lshrrev_b32_e32 v30, 16, v25
	v_fma_f16 v49, v15, v10, v49
	v_mul_f16_sdwa v10, v15, v10 dst_sel:DWORD dst_unused:UNUSED_PAD src0_sel:WORD_1 src1_sel:DWORD
	v_fma_f16 v10, v15, v29, -v10
	v_mul_f16_sdwa v15, v16, v30 dst_sel:DWORD dst_unused:UNUSED_PAD src0_sel:WORD_1 src1_sel:DWORD
	s_waitcnt lgkmcnt(1)
	v_lshrrev_b32_e32 v39, 16, v23
	v_fma_f16 v15, v16, v25, v15
	v_mul_f16_sdwa v25, v16, v25 dst_sel:DWORD dst_unused:UNUSED_PAD src0_sel:WORD_1 src1_sel:DWORD
	v_fma_f16 v16, v16, v30, -v25
	v_mul_f16_sdwa v25, v13, v39 dst_sel:DWORD dst_unused:UNUSED_PAD src0_sel:WORD_1 src1_sel:DWORD
	v_lshrrev_b32_e32 v45, 16, v26
	v_fma_f16 v25, v13, v23, v25
	v_mul_f16_sdwa v23, v13, v23 dst_sel:DWORD dst_unused:UNUSED_PAD src0_sel:WORD_1 src1_sel:DWORD
	v_fma_f16 v13, v13, v39, -v23
	v_mul_f16_sdwa v23, v14, v45 dst_sel:DWORD dst_unused:UNUSED_PAD src0_sel:WORD_1 src1_sel:DWORD
	;; [unrolled: 5-line block ×3, first 2 shown]
	s_waitcnt lgkmcnt(0)
	v_lshrrev_b32_e32 v48, 16, v27
	v_fma_f16 v26, v17, v24, v26
	v_mul_f16_sdwa v24, v17, v24 dst_sel:DWORD dst_unused:UNUSED_PAD src0_sel:WORD_1 src1_sel:DWORD
	v_fma_f16 v17, v17, v47, -v24
	v_mul_f16_sdwa v24, v18, v48 dst_sel:DWORD dst_unused:UNUSED_PAD src0_sel:WORD_1 src1_sel:DWORD
	v_fma_f16 v24, v18, v27, v24
	v_mul_f16_sdwa v27, v18, v27 dst_sel:DWORD dst_unused:UNUSED_PAD src0_sel:WORD_1 src1_sel:DWORD
	v_add_f16_e32 v29, v49, v15
	v_lshrrev_b32_e32 v28, 16, v21
	v_fma_f16 v18, v18, v48, -v27
	v_add_f16_e32 v27, v21, v49
	v_fma_f16 v21, v29, -0.5, v21
	v_sub_f16_e32 v29, v10, v16
	s_mov_b32 s4, 0xbaee
	s_movk_i32 s5, 0x3aee
	v_fma_f16 v30, v29, s4, v21
	v_fma_f16 v21, v29, s5, v21
	v_add_f16_e32 v29, v28, v10
	v_add_f16_e32 v10, v10, v16
	;; [unrolled: 1-line block ×3, first 2 shown]
	v_fma_f16 v10, v10, -0.5, v28
	v_sub_f16_e32 v15, v49, v15
	v_add_f16_e32 v28, v25, v23
	v_lshrrev_b32_e32 v37, 16, v22
	v_add_f16_e32 v29, v29, v16
	v_fma_f16 v16, v15, s5, v10
	v_fma_f16 v10, v15, s4, v10
	v_add_f16_e32 v15, v22, v25
	v_fma_f16 v22, v28, -0.5, v22
	v_sub_f16_e32 v28, v13, v14
	v_fma_f16 v39, v28, s4, v22
	v_fma_f16 v22, v28, s5, v22
	v_add_f16_e32 v28, v37, v13
	v_add_f16_e32 v13, v13, v14
	;; [unrolled: 1-line block ×3, first 2 shown]
	v_fma_f16 v13, v13, -0.5, v37
	v_sub_f16_e32 v14, v25, v23
	v_add_f16_e32 v25, v26, v24
	v_lshrrev_b32_e32 v46, 16, v9
	v_add_f16_e32 v15, v15, v23
	v_fma_f16 v23, v14, s5, v13
	v_fma_f16 v13, v14, s4, v13
	v_add_f16_e32 v14, v9, v26
	v_fma_f16 v9, v25, -0.5, v9
	v_sub_f16_e32 v25, v17, v18
	v_fma_f16 v37, v25, s4, v9
	v_fma_f16 v9, v25, s5, v9
	v_add_f16_e32 v25, v46, v17
	v_add_f16_e32 v17, v17, v18
	;; [unrolled: 1-line block ×3, first 2 shown]
	v_fma_f16 v17, v17, -0.5, v46
	v_sub_f16_e32 v18, v26, v24
	v_pack_b32_f16 v10, v21, v10
	v_add_f16_e32 v14, v14, v24
	v_fma_f16 v24, v18, s5, v17
	v_fma_f16 v17, v18, s4, v17
	s_barrier
	v_pack_b32_f16 v18, v27, v29
	v_pack_b32_f16 v16, v30, v16
	ds_write_b32 v42, v10 offset:104
	v_pack_b32_f16 v10, v15, v28
	v_pack_b32_f16 v15, v39, v23
	ds_write2_b32 v42, v18, v16 offset1:13
	ds_write2_b32 v43, v10, v15 offset1:13
	v_pack_b32_f16 v10, v22, v13
	ds_write_b32 v43, v10 offset:104
	v_pack_b32_f16 v10, v14, v25
	v_pack_b32_f16 v13, v37, v24
	;; [unrolled: 1-line block ×3, first 2 shown]
	ds_write2_b32 v44, v10, v13 offset1:13
	ds_write_b32 v44, v9 offset:104
	s_and_saveexec_b64 s[2:3], s[0:1]
	s_cbranch_execz .LBB0_21
; %bb.20:
	v_mul_f16_sdwa v9, v11, v31 dst_sel:DWORD dst_unused:UNUSED_PAD src0_sel:WORD_1 src1_sel:DWORD
	v_mul_f16_sdwa v10, v12, v32 dst_sel:DWORD dst_unused:UNUSED_PAD src0_sel:WORD_1 src1_sel:DWORD
	;; [unrolled: 1-line block ×3, first 2 shown]
	v_fma_f16 v9, v11, v61, -v9
	v_fma_f16 v10, v12, v59, -v10
	v_fma_f16 v11, v11, v31, v14
	v_mul_f16_sdwa v14, v12, v59 dst_sel:DWORD dst_unused:UNUSED_PAD src0_sel:WORD_1 src1_sel:DWORD
	v_add_f16_e32 v13, v9, v10
	v_fma_f16 v12, v12, v32, v14
	v_fma_f16 v13, v13, -0.5, v60
	v_sub_f16_e32 v14, v11, v12
	v_add_f16_e32 v16, v11, v12
	v_fma_f16 v15, v14, s4, v13
	v_fma_f16 v13, v14, s5, v13
	v_add_f16_e32 v14, v60, v9
	v_fma_f16 v16, v16, -0.5, v58
	v_sub_f16_e32 v9, v9, v10
	v_add_f16_e32 v11, v58, v11
	v_add_f16_e32 v14, v14, v10
	v_fma_f16 v10, v9, s5, v16
	v_fma_f16 v9, v9, s4, v16
	v_add_f16_e32 v11, v11, v12
	v_add_u32_sdwa v12, v41, v40 dst_sel:DWORD dst_unused:UNUSED_PAD src0_sel:DWORD src1_sel:BYTE_0
	v_lshl_add_u32 v12, v12, 2, v35
	v_pack_b32_f16 v11, v11, v14
	v_pack_b32_f16 v9, v9, v13
	ds_write2_b32 v12, v11, v9 offset1:13
	v_pack_b32_f16 v9, v10, v15
	ds_write_b32 v12, v9 offset:104
.LBB0_21:
	s_or_b64 exec, exec, s[2:3]
	s_waitcnt lgkmcnt(0)
	s_barrier
	ds_read2_b32 v[9:10], v38 offset1:39
	ds_read_b32 v21, v38 offset:312
	ds_read2_b32 v[11:12], v38 offset0:117 offset1:156
	ds_read2_b32 v[13:14], v38 offset0:195 offset1:234
	v_add_u32_e32 v17, 0x400, v38
	s_waitcnt lgkmcnt(3)
	v_lshrrev_b32_e32 v22, 16, v10
	v_mul_f16_sdwa v32, v0, v22 dst_sel:DWORD dst_unused:UNUSED_PAD src0_sel:WORD_1 src1_sel:DWORD
	s_waitcnt lgkmcnt(2)
	v_lshrrev_b32_e32 v23, 16, v21
	v_fma_f16 v32, v0, v10, v32
	v_mul_f16_sdwa v10, v0, v10 dst_sel:DWORD dst_unused:UNUSED_PAD src0_sel:WORD_1 src1_sel:DWORD
	v_fma_f16 v0, v0, v22, -v10
	v_mul_f16_sdwa v10, v1, v23 dst_sel:DWORD dst_unused:UNUSED_PAD src0_sel:WORD_1 src1_sel:DWORD
	s_waitcnt lgkmcnt(1)
	v_lshrrev_b32_e32 v24, 16, v11
	v_fma_f16 v10, v1, v21, v10
	v_mul_f16_sdwa v21, v1, v21 dst_sel:DWORD dst_unused:UNUSED_PAD src0_sel:WORD_1 src1_sel:DWORD
	v_fma_f16 v1, v1, v23, -v21
	v_mul_f16_sdwa v21, v2, v24 dst_sel:DWORD dst_unused:UNUSED_PAD src0_sel:WORD_1 src1_sel:DWORD
	v_lshrrev_b32_e32 v25, 16, v12
	v_fma_f16 v21, v2, v11, v21
	v_mul_f16_sdwa v11, v2, v11 dst_sel:DWORD dst_unused:UNUSED_PAD src0_sel:WORD_1 src1_sel:DWORD
	ds_read2_b32 v[15:16], v17 offset0:17 offset1:56
	v_fma_f16 v2, v2, v24, -v11
	v_mul_f16_sdwa v11, v3, v25 dst_sel:DWORD dst_unused:UNUSED_PAD src0_sel:WORD_1 src1_sel:DWORD
	s_waitcnt lgkmcnt(1)
	v_lshrrev_b32_e32 v26, 16, v13
	v_fma_f16 v11, v3, v12, v11
	v_mul_f16_sdwa v12, v3, v12 dst_sel:DWORD dst_unused:UNUSED_PAD src0_sel:WORD_1 src1_sel:DWORD
	v_fma_f16 v3, v3, v25, -v12
	v_mul_f16_sdwa v12, v4, v26 dst_sel:DWORD dst_unused:UNUSED_PAD src0_sel:WORD_1 src1_sel:DWORD
	v_lshrrev_b32_e32 v27, 16, v14
	v_fma_f16 v12, v4, v13, v12
	v_mul_f16_sdwa v13, v4, v13 dst_sel:DWORD dst_unused:UNUSED_PAD src0_sel:WORD_1 src1_sel:DWORD
	ds_read2_b32 v[17:18], v17 offset0:95 offset1:134
	v_fma_f16 v4, v4, v26, -v13
	v_mul_f16_sdwa v13, v5, v27 dst_sel:DWORD dst_unused:UNUSED_PAD src0_sel:WORD_1 src1_sel:DWORD
	s_waitcnt lgkmcnt(1)
	v_lshrrev_b32_e32 v28, 16, v15
	v_fma_f16 v13, v5, v14, v13
	v_mul_f16_sdwa v14, v5, v14 dst_sel:DWORD dst_unused:UNUSED_PAD src0_sel:WORD_1 src1_sel:DWORD
	v_fma_f16 v5, v5, v27, -v14
	v_mul_f16_sdwa v14, v6, v28 dst_sel:DWORD dst_unused:UNUSED_PAD src0_sel:WORD_1 src1_sel:DWORD
	v_lshrrev_b32_e32 v29, 16, v16
	v_fma_f16 v14, v6, v15, v14
	v_mul_f16_sdwa v15, v6, v15 dst_sel:DWORD dst_unused:UNUSED_PAD src0_sel:WORD_1 src1_sel:DWORD
	v_fma_f16 v6, v6, v28, -v15
	v_mul_f16_sdwa v15, v7, v29 dst_sel:DWORD dst_unused:UNUSED_PAD src0_sel:WORD_1 src1_sel:DWORD
	s_waitcnt lgkmcnt(0)
	v_lshrrev_b32_e32 v30, 16, v17
	v_fma_f16 v15, v7, v16, v15
	v_mul_f16_sdwa v16, v7, v16 dst_sel:DWORD dst_unused:UNUSED_PAD src0_sel:WORD_1 src1_sel:DWORD
	v_fma_f16 v7, v7, v29, -v16
	v_mul_f16_sdwa v16, v19, v30 dst_sel:DWORD dst_unused:UNUSED_PAD src0_sel:WORD_1 src1_sel:DWORD
	v_lshrrev_b32_e32 v31, 16, v18
	v_fma_f16 v16, v19, v17, v16
	v_mul_f16_sdwa v17, v19, v17 dst_sel:DWORD dst_unused:UNUSED_PAD src0_sel:WORD_1 src1_sel:DWORD
	v_fma_f16 v17, v19, v30, -v17
	v_mul_f16_sdwa v19, v20, v31 dst_sel:DWORD dst_unused:UNUSED_PAD src0_sel:WORD_1 src1_sel:DWORD
	v_fma_f16 v19, v20, v18, v19
	v_mul_f16_sdwa v18, v20, v18 dst_sel:DWORD dst_unused:UNUSED_PAD src0_sel:WORD_1 src1_sel:DWORD
	v_fma_f16 v18, v20, v31, -v18
	v_add_f16_e32 v20, v9, v32
	v_add_f16_sdwa v22, v9, v0 dst_sel:DWORD dst_unused:UNUSED_PAD src0_sel:WORD_1 src1_sel:DWORD
	v_add_f16_e32 v20, v20, v10
	v_add_f16_e32 v22, v22, v1
	v_add_f16_e32 v20, v20, v21
	v_add_f16_e32 v22, v22, v2
	v_add_f16_e32 v20, v20, v11
	v_add_f16_e32 v22, v22, v3
	v_add_f16_e32 v20, v20, v12
	v_add_f16_e32 v22, v22, v4
	v_add_f16_e32 v20, v20, v13
	v_add_f16_e32 v22, v22, v5
	v_add_f16_e32 v20, v20, v14
	v_add_f16_e32 v22, v22, v6
	v_add_f16_e32 v20, v20, v15
	v_add_f16_e32 v22, v22, v7
	v_add_f16_e32 v20, v20, v16
	v_add_f16_e32 v22, v22, v17
	v_add_f16_e32 v24, v0, v18
	v_sub_f16_e32 v0, v0, v18
	v_add_f16_e32 v20, v20, v19
	v_add_f16_e32 v22, v22, v18
	;; [unrolled: 1-line block ×3, first 2 shown]
	v_sub_f16_e32 v19, v32, v19
	s_mov_b32 s5, 0xb853
	v_mul_f16_e32 v18, 0xb853, v0
	s_movk_i32 s14, 0x3abb
	v_mul_f16_e32 v26, 0x3abb, v24
	s_movk_i32 s15, 0x3853
	s_mov_b32 s1, 0xbb47
	v_mul_f16_e32 v28, 0xbb47, v0
	s_movk_i32 s2, 0x36a6
	v_mul_f16_e32 v30, 0x36a6, v24
	s_movk_i32 s3, 0x3b47
	s_mov_b32 s0, 0xbbeb
	v_mul_f16_e32 v32, 0xbbeb, v0
	s_mov_b32 s4, 0xb08e
	v_mul_f16_e32 v37, 0xb08e, v24
	s_movk_i32 s16, 0x3beb
	s_mov_b32 s17, 0xba0c
	v_mul_f16_e32 v39, 0xba0c, v0
	s_mov_b32 s18, 0xb93d
	;; [unrolled: 5-line block ×3, first 2 shown]
	v_mul_f16_e32 v24, 0xbbad, v24
	s_movk_i32 s22, 0x3482
	v_fma_f16 v25, v23, s14, v18
	v_fma_f16 v27, v19, s15, v26
	v_fma_f16 v18, v23, s14, -v18
	v_fma_f16 v26, v19, s5, v26
	v_fma_f16 v29, v23, s2, v28
	v_fma_f16 v31, v19, s3, v30
	v_fma_f16 v28, v23, s2, -v28
	v_fma_f16 v30, v19, s1, v30
	;; [unrolled: 4-line block ×5, first 2 shown]
	v_add_f16_e32 v23, v1, v17
	v_sub_f16_e32 v1, v1, v17
	v_add_f16_e32 v25, v9, v25
	v_add_f16_sdwa v27, v9, v27 dst_sel:DWORD dst_unused:UNUSED_PAD src0_sel:WORD_1 src1_sel:DWORD
	v_add_f16_e32 v18, v9, v18
	v_add_f16_sdwa v26, v9, v26 dst_sel:DWORD dst_unused:UNUSED_PAD src0_sel:WORD_1 src1_sel:DWORD
	;; [unrolled: 2-line block ×10, first 2 shown]
	v_add_f16_e32 v19, v10, v16
	v_sub_f16_e32 v10, v10, v16
	v_mul_f16_e32 v16, 0xbb47, v1
	v_fma_f16 v17, v19, s2, v16
	v_mul_f16_e32 v24, 0x36a6, v23
	v_fma_f16 v16, v19, s2, -v16
	v_add_f16_e32 v17, v17, v25
	v_fma_f16 v25, v10, s3, v24
	v_add_f16_e32 v16, v16, v18
	v_fma_f16 v18, v10, s1, v24
	v_mul_f16_e32 v24, 0xba0c, v1
	v_add_f16_e32 v25, v25, v27
	v_add_f16_e32 v18, v18, v26
	v_fma_f16 v26, v19, s18, v24
	v_mul_f16_e32 v27, 0xb93d, v23
	v_fma_f16 v24, v19, s18, -v24
	v_add_f16_e32 v26, v26, v29
	v_fma_f16 v29, v10, s19, v27
	v_add_f16_e32 v24, v24, v28
	v_fma_f16 v27, v10, s17, v27
	v_mul_f16_e32 v28, 0x3482, v1
	v_add_f16_e32 v29, v29, v31
	v_add_f16_e32 v27, v27, v30
	;; [unrolled: 10-line block ×3, first 2 shown]
	v_fma_f16 v37, v19, s4, v32
	v_mul_f16_e32 v38, 0xb08e, v23
	v_fma_f16 v32, v19, s4, -v32
	v_mul_f16_e32 v1, 0x3853, v1
	v_add_f16_e32 v37, v37, v40
	v_fma_f16 v40, v10, s0, v38
	v_add_f16_e32 v32, v32, v39
	v_fma_f16 v38, v10, s16, v38
	v_fma_f16 v39, v19, s14, v1
	v_mul_f16_e32 v23, 0x3abb, v23
	v_fma_f16 v1, v19, s14, -v1
	v_add_f16_e32 v38, v38, v41
	v_fma_f16 v41, v10, s5, v23
	v_add_f16_e32 v0, v1, v0
	v_fma_f16 v1, v10, s15, v23
	v_add_f16_e32 v10, v2, v7
	v_sub_f16_e32 v2, v2, v7
	v_add_f16_e32 v1, v1, v9
	v_add_f16_e32 v9, v21, v15
	v_mul_f16_e32 v7, 0xbbeb, v2
	v_fma_f16 v19, v9, s4, v7
	v_sub_f16_e32 v15, v21, v15
	v_add_f16_e32 v17, v19, v17
	v_mul_f16_e32 v19, 0xb08e, v10
	v_fma_f16 v7, v9, s4, -v7
	v_add_f16_e32 v7, v7, v16
	v_fma_f16 v16, v15, s0, v19
	v_add_f16_e32 v16, v16, v18
	v_mul_f16_e32 v18, 0x3482, v2
	v_fma_f16 v21, v15, s16, v19
	v_fma_f16 v19, v9, s21, v18
	v_fma_f16 v18, v9, s21, -v18
	v_mul_f16_e32 v23, 0xbbad, v10
	v_add_f16_e32 v18, v18, v24
	v_mul_f16_e32 v24, 0x3b47, v2
	v_add_f16_e32 v21, v21, v25
	v_add_f16_e32 v19, v19, v26
	v_fma_f16 v25, v15, s20, v23
	v_fma_f16 v23, v15, s22, v23
	;; [unrolled: 1-line block ×3, first 2 shown]
	v_fma_f16 v24, v9, s2, -v24
	v_add_f16_e32 v23, v23, v27
	v_mul_f16_e32 v27, 0x36a6, v10
	v_add_f16_e32 v24, v24, v28
	v_mul_f16_e32 v28, 0xb853, v2
	v_add_f16_e32 v25, v25, v29
	v_add_f16_e32 v26, v26, v30
	v_fma_f16 v29, v15, s1, v27
	v_fma_f16 v27, v15, s3, v27
	;; [unrolled: 1-line block ×3, first 2 shown]
	v_fma_f16 v28, v9, s14, -v28
	v_mul_f16_e32 v2, 0xba0c, v2
	v_add_f16_e32 v27, v27, v31
	v_mul_f16_e32 v31, 0x3abb, v10
	v_add_f16_e32 v28, v28, v32
	v_fma_f16 v32, v9, s18, v2
	v_mul_f16_e32 v10, 0xb93d, v10
	v_fma_f16 v2, v9, s18, -v2
	v_add_f16_e32 v0, v2, v0
	v_fma_f16 v2, v15, s17, v10
	v_add_f16_e32 v9, v3, v6
	v_sub_f16_e32 v3, v3, v6
	v_add_f16_e32 v1, v2, v1
	v_add_f16_e32 v2, v11, v14
	v_mul_f16_e32 v6, 0xba0c, v3
	v_add_f16_e32 v30, v30, v37
	v_fma_f16 v37, v15, s19, v10
	v_sub_f16_e32 v10, v11, v14
	v_fma_f16 v11, v2, s18, v6
	v_mul_f16_e32 v14, 0xb93d, v9
	v_fma_f16 v6, v2, s18, -v6
	v_add_f16_e32 v29, v29, v35
	v_fma_f16 v35, v15, s15, v31
	v_fma_f16 v31, v15, s5, v31
	;; [unrolled: 1-line block ×3, first 2 shown]
	v_add_f16_e32 v6, v6, v7
	v_fma_f16 v7, v10, s17, v14
	v_mul_f16_e32 v14, 0x3beb, v3
	v_add_f16_e32 v7, v7, v16
	v_fma_f16 v16, v2, s4, v14
	v_fma_f16 v14, v2, s4, -v14
	v_add_f16_e32 v11, v11, v17
	v_mul_f16_e32 v17, 0xb08e, v9
	v_add_f16_e32 v14, v14, v18
	v_mul_f16_e32 v18, 0xb853, v3
	v_add_f16_e32 v15, v15, v21
	v_add_f16_e32 v16, v16, v19
	v_fma_f16 v19, v10, s0, v17
	v_fma_f16 v17, v10, s16, v17
	;; [unrolled: 1-line block ×3, first 2 shown]
	v_fma_f16 v18, v2, s14, -v18
	v_add_f16_e32 v17, v17, v23
	v_mul_f16_e32 v23, 0x3abb, v9
	v_add_f16_e32 v18, v18, v24
	v_mul_f16_e32 v24, 0xb482, v3
	v_add_f16_e32 v19, v19, v25
	v_add_f16_e32 v21, v21, v26
	v_fma_f16 v25, v10, s15, v23
	v_fma_f16 v23, v10, s5, v23
	;; [unrolled: 1-line block ×3, first 2 shown]
	v_fma_f16 v24, v2, s21, -v24
	v_mul_f16_e32 v3, 0x3b47, v3
	v_add_f16_e32 v23, v23, v27
	v_mul_f16_e32 v27, 0xbbad, v9
	v_add_f16_e32 v24, v24, v28
	v_fma_f16 v28, v2, s2, v3
	v_mul_f16_e32 v9, 0x36a6, v9
	v_fma_f16 v2, v2, s2, -v3
	v_add_f16_e32 v0, v2, v0
	v_fma_f16 v2, v10, s3, v9
	v_add_f16_e32 v3, v4, v5
	v_sub_f16_e32 v4, v4, v5
	v_add_f16_e32 v1, v2, v1
	v_add_f16_e32 v2, v12, v13
	v_mul_f16_e32 v5, 0xb482, v4
	v_add_f16_e32 v25, v25, v29
	v_add_f16_e32 v26, v26, v30
	v_fma_f16 v29, v10, s22, v27
	v_fma_f16 v27, v10, s20, v27
	;; [unrolled: 1-line block ×4, first 2 shown]
	v_sub_f16_e32 v9, v12, v13
	v_add_f16_e32 v10, v10, v11
	v_mul_f16_e32 v11, 0xbbad, v3
	v_fma_f16 v5, v2, s21, -v5
	v_add_f16_e32 v5, v5, v6
	v_fma_f16 v6, v9, s20, v11
	v_add_f16_e32 v6, v6, v7
	v_mul_f16_e32 v7, 0x3853, v4
	v_fma_f16 v12, v9, s22, v11
	v_fma_f16 v11, v2, s14, v7
	v_mul_f16_e32 v13, 0x3abb, v3
	v_fma_f16 v7, v2, s14, -v7
	v_add_f16_e32 v14, v7, v14
	v_fma_f16 v7, v9, s15, v13
	v_add_f16_e32 v12, v12, v15
	v_fma_f16 v15, v9, s5, v13
	v_add_f16_e32 v13, v7, v17
	v_mul_f16_e32 v7, 0xba0c, v4
	v_add_f16_e32 v11, v11, v16
	v_fma_f16 v16, v2, s18, v7
	v_fma_f16 v7, v2, s18, -v7
	v_mul_f16_e32 v17, 0xb93d, v3
	v_add_f16_e32 v7, v7, v18
	v_mul_f16_e32 v18, 0x3b47, v4
	v_add_f16_e32 v15, v15, v19
	v_add_f16_e32 v16, v16, v21
	v_fma_f16 v19, v9, s19, v17
	v_fma_f16 v17, v9, s17, v17
	;; [unrolled: 1-line block ×3, first 2 shown]
	v_fma_f16 v18, v2, s2, -v18
	v_mul_f16_e32 v4, 0xbbeb, v4
	v_add_f16_e32 v40, v40, v42
	v_add_f16_e32 v17, v17, v23
	v_mul_f16_e32 v23, 0x36a6, v3
	v_add_f16_e32 v18, v18, v24
	v_fma_f16 v24, v2, s4, v4
	v_mul_f16_e32 v3, 0xb08e, v3
	v_fma_f16 v2, v2, s4, -v4
	v_add_f16_e32 v39, v39, v43
	v_add_f16_e32 v41, v41, v44
	;; [unrolled: 1-line block ×4, first 2 shown]
	v_fma_f16 v2, v9, s0, v3
	v_add_f16_e32 v32, v32, v39
	v_add_f16_e32 v37, v37, v41
	;; [unrolled: 1-line block ×4, first 2 shown]
	v_fma_f16 v25, v9, s1, v23
	v_add_f16_e32 v1, v2, v1
	v_pack_b32_f16 v2, v20, v22
	v_add_f16_e32 v31, v31, v38
	v_add_f16_e32 v28, v28, v32
	;; [unrolled: 1-line block ×5, first 2 shown]
	v_fma_f16 v26, v9, s16, v3
	ds_write_b32 v36, v2
	v_pack_b32_f16 v2, v10, v12
	v_pack_b32_f16 v3, v11, v15
	v_add_f16_e32 v27, v27, v31
	v_fma_f16 v23, v9, s3, v23
	v_add_f16_e32 v24, v24, v28
	v_add_f16_e32 v26, v26, v30
	ds_write2_b32 v36, v2, v3 offset0:39 offset1:78
	v_pack_b32_f16 v2, v16, v19
	v_pack_b32_f16 v3, v21, v25
	v_add_f16_e32 v23, v23, v27
	ds_write2_b32 v36, v2, v3 offset0:117 offset1:156
	v_pack_b32_f16 v2, v24, v26
	v_pack_b32_f16 v0, v0, v1
	ds_write2_b32 v36, v2, v0 offset0:195 offset1:234
	v_pack_b32_f16 v0, v18, v23
	v_pack_b32_f16 v1, v7, v17
	v_add_u32_e32 v7, 0x400, v36
	ds_write2_b32 v7, v0, v1 offset0:17 offset1:56
	v_pack_b32_f16 v0, v14, v13
	v_pack_b32_f16 v1, v5, v6
	ds_write2_b32 v7, v0, v1 offset0:95 offset1:134
	s_waitcnt lgkmcnt(0)
	s_barrier
	s_and_b64 exec, exec, vcc
	s_cbranch_execz .LBB0_23
; %bb.22:
	global_load_dword v11, v33, s[6:7]
	global_load_dword v10, v33, s[6:7] offset:132
	ds_read_b32 v17, v36
	v_mad_u64_u32 v[2:3], s[0:1], s10, v8, 0
	v_mad_u64_u32 v[4:5], s[0:1], s8, v34, 0
	v_mov_b32_e32 v6, 0x7c00
	ds_read2_b32 v[0:1], v36 offset0:33 offset1:66
	v_mad_u64_u32 v[18:19], s[0:1], s11, v8, v[3:4]
	s_waitcnt lgkmcnt(1)
	v_lshrrev_b32_e32 v3, 16, v17
	v_mad_u64_u32 v[21:22], s[0:1], s9, v34, v[5:6]
	s_mov_b32 s14, 0x58e9ebb6
	s_mov_b32 s15, 0x3f631877
	global_load_dword v12, v33, s[6:7] offset:264
	global_load_dword v13, v33, s[6:7] offset:396
	;; [unrolled: 1-line block ×6, first 2 shown]
	s_movk_i32 s18, 0x1ff
	s_movk_i32 s17, 0xffe
	v_mov_b32_e32 v5, v21
	s_movk_i32 s16, 0x40f
	s_mov_b32 s10, 0x8000
	s_waitcnt vmcnt(7)
	v_mul_f16_sdwa v8, v3, v11 dst_sel:DWORD dst_unused:UNUSED_PAD src0_sel:DWORD src1_sel:WORD_1
	v_fma_f16 v8, v17, v11, v8
	v_mul_f16_sdwa v17, v17, v11 dst_sel:DWORD dst_unused:UNUSED_PAD src0_sel:DWORD src1_sel:WORD_1
	v_cvt_f32_f16_e32 v8, v8
	v_fma_f16 v3, v11, v3, -v17
	v_cvt_f32_f16_e32 v3, v3
	v_cvt_f64_f32_e32 v[19:20], v8
	s_waitcnt lgkmcnt(0)
	v_lshrrev_b32_e32 v8, 16, v0
	v_cvt_f64_f32_e32 v[22:23], v3
	s_waitcnt vmcnt(6)
	v_mul_f16_sdwa v3, v8, v10 dst_sel:DWORD dst_unused:UNUSED_PAD src0_sel:DWORD src1_sel:WORD_1
	v_mul_f64 v[19:20], v[19:20], s[14:15]
	v_fma_f16 v3, v0, v10, v3
	v_mul_f64 v[22:23], v[22:23], s[14:15]
	v_cvt_f32_f16_e32 v11, v3
	v_mov_b32_e32 v3, v18
	v_lshlrev_b64 v[2:3], 2, v[2:3]
	v_mul_f16_sdwa v0, v0, v10 dst_sel:DWORD dst_unused:UNUSED_PAD src0_sel:DWORD src1_sel:WORD_1
	v_cvt_f64_f32_e32 v[17:18], v11
	v_and_or_b32 v11, v20, s18, v19
	v_cmp_ne_u32_e32 vcc, 0, v11
	v_and_or_b32 v22, v23, s18, v22
	v_lshrrev_b32_e32 v19, 8, v20
	v_bfe_u32 v21, v20, 20, 11
	v_cndmask_b32_e64 v11, 0, 1, vcc
	v_cmp_ne_u32_e32 vcc, 0, v22
	v_lshrrev_b32_e32 v24, 8, v23
	v_bfe_u32 v25, v23, 20, 11
	v_sub_u32_e32 v26, 0x3f1, v21
	v_cndmask_b32_e64 v22, 0, 1, vcc
	v_and_or_b32 v11, v19, s17, v11
	v_sub_u32_e32 v27, 0x3f1, v25
	v_med3_i32 v19, v26, 0, 13
	v_and_or_b32 v22, v24, s17, v22
	v_or_b32_e32 v26, 0x1000, v11
	v_add_u32_e32 v21, 0xfffffc10, v21
	v_med3_i32 v24, v27, 0, 13
	v_cmp_ne_u32_e32 vcc, 0, v11
	v_or_b32_e32 v28, 0x1000, v22
	v_lshrrev_b32_e32 v30, v19, v26
	v_add_u32_e32 v25, 0xfffffc10, v25
	v_lshl_or_b32 v27, v21, 12, v11
	v_cndmask_b32_e64 v11, 0, 1, vcc
	v_cmp_ne_u32_e32 vcc, 0, v22
	v_lshrrev_b32_e32 v31, v24, v28
	v_lshlrev_b32_e32 v19, v19, v30
	v_lshl_or_b32 v29, v25, 12, v22
	v_cndmask_b32_e64 v22, 0, 1, vcc
	v_lshlrev_b32_e32 v24, v24, v31
	v_cmp_ne_u32_e32 vcc, v19, v26
	v_cndmask_b32_e64 v19, 0, 1, vcc
	v_cmp_ne_u32_e32 vcc, v24, v28
	v_cndmask_b32_e64 v24, 0, 1, vcc
	v_or_b32_e32 v19, v30, v19
	v_cmp_gt_i32_e32 vcc, 1, v21
	v_cndmask_b32_e32 v19, v27, v19, vcc
	v_or_b32_e32 v24, v31, v24
	v_cmp_gt_i32_e32 vcc, 1, v25
	v_and_b32_e32 v26, 7, v19
	v_cndmask_b32_e32 v24, v29, v24, vcc
	v_cmp_lt_i32_e32 vcc, 5, v26
	v_cmp_eq_u32_e64 s[0:1], 3, v26
	v_lshrrev_b32_e32 v19, 2, v19
	v_and_b32_e32 v27, 7, v24
	s_or_b64 vcc, s[0:1], vcc
	v_cmp_lt_i32_e64 s[2:3], 5, v27
	v_cmp_eq_u32_e64 s[4:5], 3, v27
	v_addc_co_u32_e32 v19, vcc, 0, v19, vcc
	v_lshrrev_b32_e32 v24, 2, v24
	s_or_b64 vcc, s[4:5], s[2:3]
	v_addc_co_u32_e32 v24, vcc, 0, v24, vcc
	v_cmp_gt_i32_e32 vcc, 31, v21
	v_cndmask_b32_e32 v19, v6, v19, vcc
	v_cmp_gt_i32_e32 vcc, 31, v25
	v_lshl_or_b32 v11, v11, 9, v6
	v_cndmask_b32_e32 v24, v6, v24, vcc
	v_cmp_eq_u32_e32 vcc, s16, v21
	v_mul_f64 v[17:18], v[17:18], s[14:15]
	v_lshrrev_b32_e32 v20, 16, v20
	v_lshl_or_b32 v22, v22, 9, v6
	v_cndmask_b32_e32 v11, v19, v11, vcc
	v_cmp_eq_u32_e32 vcc, s16, v25
	v_lshrrev_b32_e32 v23, 16, v23
	v_cndmask_b32_e32 v19, v24, v22, vcc
	v_and_or_b32 v11, v20, s10, v11
	v_and_or_b32 v19, v23, s10, v19
	v_and_b32_e32 v11, 0xffff, v11
	v_lshl_or_b32 v11, v19, 16, v11
	v_mov_b32_e32 v19, s13
	v_add_co_u32_e32 v20, vcc, s12, v2
	v_addc_co_u32_e32 v19, vcc, v19, v3, vcc
	v_lshlrev_b64 v[2:3], 2, v[4:5]
	v_and_or_b32 v4, v18, s18, v17
	v_add_co_u32_e32 v2, vcc, v20, v2
	v_addc_co_u32_e32 v3, vcc, v19, v3, vcc
	v_cmp_ne_u32_e32 vcc, 0, v4
	v_cndmask_b32_e64 v4, 0, 1, vcc
	v_lshrrev_b32_e32 v5, 8, v18
	global_store_dword v[2:3], v11, off
	v_and_or_b32 v11, v5, s17, v4
	v_bfe_u32 v5, v18, 20, 11
	v_sub_u32_e32 v17, 0x3f1, v5
	v_or_b32_e32 v4, 0x1000, v11
	v_med3_i32 v17, v17, 0, 13
	v_lshrrev_b32_e32 v19, v17, v4
	v_lshlrev_b32_e32 v17, v17, v19
	v_cmp_ne_u32_e32 vcc, v17, v4
	v_fma_f16 v0, v10, v8, -v0
	v_cndmask_b32_e64 v4, 0, 1, vcc
	v_add_u32_e32 v17, 0xfffffc10, v5
	v_cvt_f32_f16_e32 v0, v0
	v_or_b32_e32 v4, v19, v4
	v_lshl_or_b32 v5, v17, 12, v11
	v_cmp_gt_i32_e32 vcc, 1, v17
	v_cndmask_b32_e32 v4, v5, v4, vcc
	v_and_b32_e32 v5, 7, v4
	v_cmp_lt_i32_e32 vcc, 5, v5
	v_cmp_eq_u32_e64 s[0:1], 3, v5
	v_lshrrev_b32_e32 v8, 2, v4
	v_cvt_f64_f32_e32 v[4:5], v0
	s_or_b64 vcc, s[0:1], vcc
	v_addc_co_u32_e32 v0, vcc, 0, v8, vcc
	v_mul_f64 v[4:5], v[4:5], s[14:15]
	v_cmp_gt_i32_e32 vcc, 31, v17
	v_cndmask_b32_e32 v0, v6, v0, vcc
	v_cmp_ne_u32_e32 vcc, 0, v11
	v_cndmask_b32_e64 v8, 0, 1, vcc
	v_lshl_or_b32 v8, v8, 9, v6
	v_cmp_eq_u32_e32 vcc, s16, v17
	v_cndmask_b32_e32 v0, v0, v8, vcc
	v_and_or_b32 v4, v5, s18, v4
	v_lshrrev_b32_e32 v8, 16, v18
	v_cmp_ne_u32_e32 vcc, 0, v4
	v_and_or_b32 v0, v8, s10, v0
	v_cndmask_b32_e64 v4, 0, 1, vcc
	v_lshrrev_b32_e32 v8, 8, v5
	v_bfe_u32 v10, v5, 20, 11
	v_and_or_b32 v4, v8, s17, v4
	v_sub_u32_e32 v11, 0x3f1, v10
	v_or_b32_e32 v8, 0x1000, v4
	v_med3_i32 v11, v11, 0, 13
	v_lshrrev_b32_e32 v17, v11, v8
	v_lshlrev_b32_e32 v11, v11, v17
	v_cmp_ne_u32_e32 vcc, v11, v8
	v_cndmask_b32_e64 v8, 0, 1, vcc
	v_add_u32_e32 v10, 0xfffffc10, v10
	v_or_b32_e32 v8, v17, v8
	v_lshl_or_b32 v11, v10, 12, v4
	v_cmp_gt_i32_e32 vcc, 1, v10
	v_cndmask_b32_e32 v8, v11, v8, vcc
	v_and_b32_e32 v11, 7, v8
	v_cmp_lt_i32_e32 vcc, 5, v11
	v_cmp_eq_u32_e64 s[0:1], 3, v11
	v_lshrrev_b32_e32 v8, 2, v8
	s_or_b64 vcc, s[0:1], vcc
	v_addc_co_u32_e32 v8, vcc, 0, v8, vcc
	v_cmp_gt_i32_e32 vcc, 31, v10
	v_cndmask_b32_e32 v8, v6, v8, vcc
	v_cmp_ne_u32_e32 vcc, 0, v4
	v_cndmask_b32_e64 v4, 0, 1, vcc
	v_lshl_or_b32 v4, v4, 9, v6
	v_cmp_eq_u32_e32 vcc, s16, v10
	v_cndmask_b32_e32 v4, v8, v4, vcc
	v_lshrrev_b32_e32 v8, 16, v1
	s_waitcnt vmcnt(6)
	v_mul_f16_sdwa v10, v8, v12 dst_sel:DWORD dst_unused:UNUSED_PAD src0_sel:DWORD src1_sel:WORD_1
	v_fma_f16 v10, v1, v12, v10
	v_cvt_f32_f16_e32 v10, v10
	v_lshrrev_b32_e32 v5, 16, v5
	v_and_or_b32 v4, v5, s10, v4
	v_and_b32_e32 v0, 0xffff, v0
	v_lshl_or_b32 v0, v4, 16, v0
	v_cvt_f64_f32_e32 v[4:5], v10
	s_mul_i32 s0, s9, 0x84
	s_mul_hi_u32 s2, s8, 0x84
	s_add_i32 s2, s2, s0
	v_mul_f64 v[4:5], v[4:5], s[14:15]
	s_mul_i32 s3, s8, 0x84
	v_mov_b32_e32 v10, s2
	v_add_co_u32_e32 v2, vcc, s3, v2
	v_addc_co_u32_e32 v3, vcc, v3, v10, vcc
	global_store_dword v[2:3], v0, off
	v_and_or_b32 v0, v5, s18, v4
	v_cmp_ne_u32_e32 vcc, 0, v0
	v_cndmask_b32_e64 v0, 0, 1, vcc
	v_lshrrev_b32_e32 v4, 8, v5
	v_bfe_u32 v10, v5, 20, 11
	v_and_or_b32 v4, v4, s17, v0
	v_sub_u32_e32 v11, 0x3f1, v10
	v_or_b32_e32 v0, 0x1000, v4
	v_med3_i32 v11, v11, 0, 13
	v_lshrrev_b32_e32 v17, v11, v0
	v_mul_f16_sdwa v1, v1, v12 dst_sel:DWORD dst_unused:UNUSED_PAD src0_sel:DWORD src1_sel:WORD_1
	v_lshlrev_b32_e32 v11, v11, v17
	v_fma_f16 v1, v12, v8, -v1
	v_cmp_ne_u32_e32 vcc, v11, v0
	v_cvt_f32_f16_e32 v1, v1
	v_cndmask_b32_e64 v0, 0, 1, vcc
	v_add_u32_e32 v10, 0xfffffc10, v10
	v_or_b32_e32 v0, v17, v0
	v_lshl_or_b32 v11, v10, 12, v4
	v_cmp_gt_i32_e32 vcc, 1, v10
	v_cndmask_b32_e32 v0, v11, v0, vcc
	v_and_b32_e32 v11, 7, v0
	v_lshrrev_b32_e32 v8, 2, v0
	v_cvt_f64_f32_e32 v[0:1], v1
	v_cmp_lt_i32_e32 vcc, 5, v11
	v_cmp_eq_u32_e64 s[0:1], 3, v11
	s_or_b64 vcc, s[0:1], vcc
	v_mul_f64 v[0:1], v[0:1], s[14:15]
	v_addc_co_u32_e32 v8, vcc, 0, v8, vcc
	v_cmp_gt_i32_e32 vcc, 31, v10
	v_cndmask_b32_e32 v8, v6, v8, vcc
	v_cmp_ne_u32_e32 vcc, 0, v4
	v_cndmask_b32_e64 v4, 0, 1, vcc
	v_lshl_or_b32 v4, v4, 9, v6
	v_cmp_eq_u32_e32 vcc, s16, v10
	v_and_or_b32 v0, v1, s18, v0
	v_cndmask_b32_e32 v4, v8, v4, vcc
	v_lshrrev_b32_e32 v5, 16, v5
	v_cmp_ne_u32_e32 vcc, 0, v0
	v_and_or_b32 v8, v5, s10, v4
	v_cndmask_b32_e64 v0, 0, 1, vcc
	v_lshrrev_b32_e32 v4, 8, v1
	v_bfe_u32 v5, v1, 20, 11
	v_and_or_b32 v0, v4, s17, v0
	v_sub_u32_e32 v10, 0x3f1, v5
	v_or_b32_e32 v4, 0x1000, v0
	v_med3_i32 v10, v10, 0, 13
	v_lshrrev_b32_e32 v11, v10, v4
	v_lshlrev_b32_e32 v10, v10, v11
	v_cmp_ne_u32_e32 vcc, v10, v4
	v_cndmask_b32_e64 v4, 0, 1, vcc
	v_add_u32_e32 v10, 0xfffffc10, v5
	v_or_b32_e32 v4, v11, v4
	v_lshl_or_b32 v5, v10, 12, v0
	v_cmp_gt_i32_e32 vcc, 1, v10
	v_cndmask_b32_e32 v4, v5, v4, vcc
	v_and_b32_e32 v5, 7, v4
	v_cmp_lt_i32_e32 vcc, 5, v5
	v_cmp_eq_u32_e64 s[0:1], 3, v5
	v_lshrrev_b32_e32 v4, 2, v4
	s_or_b64 vcc, s[0:1], vcc
	v_addc_co_u32_e32 v11, vcc, 0, v4, vcc
	ds_read2_b32 v[4:5], v36 offset0:99 offset1:132
	v_cmp_gt_i32_e32 vcc, 31, v10
	v_cndmask_b32_e32 v11, v6, v11, vcc
	v_cmp_ne_u32_e32 vcc, 0, v0
	v_cndmask_b32_e64 v0, 0, 1, vcc
	s_waitcnt lgkmcnt(0)
	v_lshrrev_b32_e32 v12, 16, v4
	s_waitcnt vmcnt(6)
	v_mul_f16_sdwa v17, v12, v13 dst_sel:DWORD dst_unused:UNUSED_PAD src0_sel:DWORD src1_sel:WORD_1
	v_fma_f16 v17, v4, v13, v17
	v_cvt_f32_f16_e32 v17, v17
	v_lshl_or_b32 v0, v0, 9, v6
	v_cmp_eq_u32_e32 vcc, s16, v10
	v_cndmask_b32_e32 v0, v11, v0, vcc
	v_cvt_f64_f32_e32 v[10:11], v17
	v_lshrrev_b32_e32 v1, 16, v1
	v_and_or_b32 v17, v1, s10, v0
	v_add_co_u32_e32 v2, vcc, s3, v2
	v_mul_f64 v[0:1], v[10:11], s[14:15]
	v_mov_b32_e32 v10, s2
	v_and_b32_e32 v8, 0xffff, v8
	v_addc_co_u32_e32 v3, vcc, v3, v10, vcc
	v_lshl_or_b32 v8, v17, 16, v8
	global_store_dword v[2:3], v8, off
	v_mul_f16_sdwa v4, v4, v13 dst_sel:DWORD dst_unused:UNUSED_PAD src0_sel:DWORD src1_sel:WORD_1
	v_and_or_b32 v0, v1, s18, v0
	v_cmp_ne_u32_e32 vcc, 0, v0
	v_cndmask_b32_e64 v0, 0, 1, vcc
	v_lshrrev_b32_e32 v8, 8, v1
	v_bfe_u32 v10, v1, 20, 11
	v_and_or_b32 v0, v8, s17, v0
	v_sub_u32_e32 v11, 0x3f1, v10
	v_or_b32_e32 v8, 0x1000, v0
	v_med3_i32 v11, v11, 0, 13
	v_lshrrev_b32_e32 v17, v11, v8
	v_lshlrev_b32_e32 v11, v11, v17
	v_cmp_ne_u32_e32 vcc, v11, v8
	v_cndmask_b32_e64 v8, 0, 1, vcc
	v_fma_f16 v4, v13, v12, -v4
	v_or_b32_e32 v8, v17, v8
	v_add_u32_e32 v17, 0xfffffc10, v10
	v_cvt_f32_f16_e32 v4, v4
	v_lshl_or_b32 v10, v17, 12, v0
	v_cmp_gt_i32_e32 vcc, 1, v17
	v_cndmask_b32_e32 v8, v10, v8, vcc
	v_and_b32_e32 v10, 7, v8
	v_cmp_lt_i32_e32 vcc, 5, v10
	v_cmp_eq_u32_e64 s[0:1], 3, v10
	v_cvt_f64_f32_e32 v[10:11], v4
	v_lshrrev_b32_e32 v8, 2, v8
	s_or_b64 vcc, s[0:1], vcc
	v_addc_co_u32_e32 v4, vcc, 0, v8, vcc
	v_mul_f64 v[10:11], v[10:11], s[14:15]
	v_cmp_gt_i32_e32 vcc, 31, v17
	v_cndmask_b32_e32 v4, v6, v4, vcc
	v_cmp_ne_u32_e32 vcc, 0, v0
	v_cndmask_b32_e64 v0, 0, 1, vcc
	v_lshl_or_b32 v0, v0, 9, v6
	v_cmp_eq_u32_e32 vcc, s16, v17
	v_cndmask_b32_e32 v0, v4, v0, vcc
	v_lshrrev_b32_e32 v1, 16, v1
	v_and_or_b32 v4, v1, s10, v0
	v_and_or_b32 v0, v11, s18, v10
	v_cmp_ne_u32_e32 vcc, 0, v0
	v_cndmask_b32_e64 v0, 0, 1, vcc
	v_lshrrev_b32_e32 v1, 8, v11
	v_bfe_u32 v8, v11, 20, 11
	v_and_or_b32 v0, v1, s17, v0
	v_sub_u32_e32 v10, 0x3f1, v8
	v_or_b32_e32 v1, 0x1000, v0
	v_med3_i32 v10, v10, 0, 13
	v_lshrrev_b32_e32 v12, v10, v1
	v_lshlrev_b32_e32 v10, v10, v12
	v_cmp_ne_u32_e32 vcc, v10, v1
	v_cndmask_b32_e64 v1, 0, 1, vcc
	v_add_u32_e32 v8, 0xfffffc10, v8
	v_or_b32_e32 v1, v12, v1
	v_lshl_or_b32 v10, v8, 12, v0
	v_cmp_gt_i32_e32 vcc, 1, v8
	v_cndmask_b32_e32 v1, v10, v1, vcc
	v_and_b32_e32 v10, 7, v1
	v_cmp_lt_i32_e32 vcc, 5, v10
	v_cmp_eq_u32_e64 s[0:1], 3, v10
	v_lshrrev_b32_e32 v10, 16, v5
	v_lshrrev_b32_e32 v1, 2, v1
	s_or_b64 vcc, s[0:1], vcc
	s_waitcnt vmcnt(6)
	v_mul_f16_sdwa v12, v10, v14 dst_sel:DWORD dst_unused:UNUSED_PAD src0_sel:DWORD src1_sel:WORD_1
	v_addc_co_u32_e32 v1, vcc, 0, v1, vcc
	v_fma_f16 v12, v5, v14, v12
	v_cmp_gt_i32_e32 vcc, 31, v8
	v_cvt_f32_f16_e32 v12, v12
	v_cndmask_b32_e32 v1, v6, v1, vcc
	v_cmp_ne_u32_e32 vcc, 0, v0
	v_cndmask_b32_e64 v0, 0, 1, vcc
	v_lshl_or_b32 v0, v0, 9, v6
	v_cmp_eq_u32_e32 vcc, s16, v8
	v_cndmask_b32_e32 v8, v1, v0, vcc
	v_cvt_f64_f32_e32 v[0:1], v12
	v_lshrrev_b32_e32 v11, 16, v11
	v_and_or_b32 v8, v11, s10, v8
	v_and_b32_e32 v4, 0xffff, v4
	v_mul_f64 v[0:1], v[0:1], s[14:15]
	v_lshl_or_b32 v4, v8, 16, v4
	v_mov_b32_e32 v8, s2
	v_add_co_u32_e32 v2, vcc, s3, v2
	v_addc_co_u32_e32 v3, vcc, v3, v8, vcc
	global_store_dword v[2:3], v4, off
	v_and_or_b32 v0, v1, s18, v0
	v_cmp_ne_u32_e32 vcc, 0, v0
	v_cndmask_b32_e64 v0, 0, 1, vcc
	v_lshrrev_b32_e32 v4, 8, v1
	v_bfe_u32 v8, v1, 20, 11
	v_and_or_b32 v0, v4, s17, v0
	v_sub_u32_e32 v11, 0x3f1, v8
	v_or_b32_e32 v4, 0x1000, v0
	v_med3_i32 v11, v11, 0, 13
	v_lshrrev_b32_e32 v12, v11, v4
	v_mul_f16_sdwa v5, v5, v14 dst_sel:DWORD dst_unused:UNUSED_PAD src0_sel:DWORD src1_sel:WORD_1
	v_lshlrev_b32_e32 v11, v11, v12
	v_fma_f16 v5, v14, v10, -v5
	v_cmp_ne_u32_e32 vcc, v11, v4
	v_cvt_f32_f16_e32 v5, v5
	v_cndmask_b32_e64 v4, 0, 1, vcc
	v_add_u32_e32 v8, 0xfffffc10, v8
	v_or_b32_e32 v4, v12, v4
	v_lshl_or_b32 v11, v8, 12, v0
	v_cmp_gt_i32_e32 vcc, 1, v8
	v_cndmask_b32_e32 v4, v11, v4, vcc
	v_and_b32_e32 v11, 7, v4
	v_lshrrev_b32_e32 v10, 2, v4
	v_cvt_f64_f32_e32 v[4:5], v5
	v_cmp_lt_i32_e32 vcc, 5, v11
	v_cmp_eq_u32_e64 s[0:1], 3, v11
	s_or_b64 vcc, s[0:1], vcc
	v_mul_f64 v[4:5], v[4:5], s[14:15]
	v_addc_co_u32_e32 v10, vcc, 0, v10, vcc
	v_cmp_gt_i32_e32 vcc, 31, v8
	v_cndmask_b32_e32 v10, v6, v10, vcc
	v_cmp_ne_u32_e32 vcc, 0, v0
	v_cndmask_b32_e64 v0, 0, 1, vcc
	v_lshl_or_b32 v0, v0, 9, v6
	v_cmp_eq_u32_e32 vcc, s16, v8
	v_cndmask_b32_e32 v0, v10, v0, vcc
	v_lshrrev_b32_e32 v1, 16, v1
	v_and_or_b32 v8, v1, s10, v0
	v_and_or_b32 v0, v5, s18, v4
	v_cmp_ne_u32_e32 vcc, 0, v0
	v_cndmask_b32_e64 v0, 0, 1, vcc
	v_lshrrev_b32_e32 v1, 8, v5
	v_and_or_b32 v4, v1, s17, v0
	v_bfe_u32 v1, v5, 20, 11
	v_sub_u32_e32 v10, 0x3f1, v1
	v_or_b32_e32 v0, 0x1000, v4
	v_med3_i32 v10, v10, 0, 13
	v_lshrrev_b32_e32 v11, v10, v0
	v_lshlrev_b32_e32 v10, v10, v11
	v_cmp_ne_u32_e32 vcc, v10, v0
	v_cndmask_b32_e64 v0, 0, 1, vcc
	v_add_u32_e32 v10, 0xfffffc10, v1
	v_or_b32_e32 v0, v11, v0
	v_lshl_or_b32 v1, v10, 12, v4
	v_cmp_gt_i32_e32 vcc, 1, v10
	v_cndmask_b32_e32 v0, v1, v0, vcc
	v_and_b32_e32 v1, 7, v0
	v_cmp_lt_i32_e32 vcc, 5, v1
	v_cmp_eq_u32_e64 s[0:1], 3, v1
	v_lshrrev_b32_e32 v0, 2, v0
	s_or_b64 vcc, s[0:1], vcc
	v_addc_co_u32_e32 v11, vcc, 0, v0, vcc
	ds_read2_b32 v[0:1], v36 offset0:165 offset1:198
	v_cmp_gt_i32_e32 vcc, 31, v10
	v_cndmask_b32_e32 v11, v6, v11, vcc
	v_cmp_ne_u32_e32 vcc, 0, v4
	v_cndmask_b32_e64 v4, 0, 1, vcc
	s_waitcnt lgkmcnt(0)
	v_lshrrev_b32_e32 v12, 16, v0
	s_waitcnt vmcnt(6)
	v_mul_f16_sdwa v13, v12, v15 dst_sel:DWORD dst_unused:UNUSED_PAD src0_sel:DWORD src1_sel:WORD_1
	v_fma_f16 v13, v0, v15, v13
	v_cvt_f32_f16_e32 v13, v13
	v_lshl_or_b32 v4, v4, 9, v6
	v_cmp_eq_u32_e32 vcc, s16, v10
	v_cndmask_b32_e32 v4, v11, v4, vcc
	v_cvt_f64_f32_e32 v[10:11], v13
	v_lshrrev_b32_e32 v5, 16, v5
	v_and_or_b32 v13, v5, s10, v4
	v_add_co_u32_e32 v2, vcc, s3, v2
	v_mul_f64 v[4:5], v[10:11], s[14:15]
	v_mov_b32_e32 v10, s2
	v_and_b32_e32 v8, 0xffff, v8
	v_addc_co_u32_e32 v3, vcc, v3, v10, vcc
	v_lshl_or_b32 v8, v13, 16, v8
	global_store_dword v[2:3], v8, off
	v_mul_f16_sdwa v0, v0, v15 dst_sel:DWORD dst_unused:UNUSED_PAD src0_sel:DWORD src1_sel:WORD_1
	v_and_or_b32 v4, v5, s18, v4
	v_cmp_ne_u32_e32 vcc, 0, v4
	v_cndmask_b32_e64 v4, 0, 1, vcc
	v_lshrrev_b32_e32 v8, 8, v5
	v_bfe_u32 v10, v5, 20, 11
	v_and_or_b32 v4, v8, s17, v4
	v_sub_u32_e32 v11, 0x3f1, v10
	v_or_b32_e32 v8, 0x1000, v4
	v_med3_i32 v11, v11, 0, 13
	v_lshrrev_b32_e32 v13, v11, v8
	v_lshlrev_b32_e32 v11, v11, v13
	v_cmp_ne_u32_e32 vcc, v11, v8
	v_cndmask_b32_e64 v8, 0, 1, vcc
	v_fma_f16 v0, v15, v12, -v0
	v_or_b32_e32 v8, v13, v8
	v_add_u32_e32 v13, 0xfffffc10, v10
	v_cvt_f32_f16_e32 v0, v0
	v_lshl_or_b32 v10, v13, 12, v4
	v_cmp_gt_i32_e32 vcc, 1, v13
	v_cndmask_b32_e32 v8, v10, v8, vcc
	v_and_b32_e32 v10, 7, v8
	v_cmp_lt_i32_e32 vcc, 5, v10
	v_cmp_eq_u32_e64 s[0:1], 3, v10
	v_cvt_f64_f32_e32 v[10:11], v0
	v_lshrrev_b32_e32 v8, 2, v8
	s_or_b64 vcc, s[0:1], vcc
	v_addc_co_u32_e32 v0, vcc, 0, v8, vcc
	v_mul_f64 v[10:11], v[10:11], s[14:15]
	v_cmp_gt_i32_e32 vcc, 31, v13
	v_cndmask_b32_e32 v0, v6, v0, vcc
	v_cmp_ne_u32_e32 vcc, 0, v4
	v_cndmask_b32_e64 v4, 0, 1, vcc
	v_lshl_or_b32 v4, v4, 9, v6
	v_cmp_eq_u32_e32 vcc, s16, v13
	v_cndmask_b32_e32 v0, v0, v4, vcc
	v_lshrrev_b32_e32 v4, 16, v5
	v_and_or_b32 v0, v4, s10, v0
	v_and_or_b32 v4, v11, s18, v10
	v_cmp_ne_u32_e32 vcc, 0, v4
	v_cndmask_b32_e64 v4, 0, 1, vcc
	v_lshrrev_b32_e32 v5, 8, v11
	v_bfe_u32 v8, v11, 20, 11
	v_and_or_b32 v4, v5, s17, v4
	v_sub_u32_e32 v10, 0x3f1, v8
	v_or_b32_e32 v5, 0x1000, v4
	v_med3_i32 v10, v10, 0, 13
	v_lshrrev_b32_e32 v12, v10, v5
	v_lshlrev_b32_e32 v10, v10, v12
	v_cmp_ne_u32_e32 vcc, v10, v5
	v_cndmask_b32_e64 v5, 0, 1, vcc
	v_add_u32_e32 v8, 0xfffffc10, v8
	v_or_b32_e32 v5, v12, v5
	v_lshl_or_b32 v10, v8, 12, v4
	v_cmp_gt_i32_e32 vcc, 1, v8
	v_cndmask_b32_e32 v5, v10, v5, vcc
	v_and_b32_e32 v10, 7, v5
	v_cmp_lt_i32_e32 vcc, 5, v10
	v_cmp_eq_u32_e64 s[0:1], 3, v10
	v_lshrrev_b32_e32 v10, 16, v1
	v_lshrrev_b32_e32 v5, 2, v5
	s_or_b64 vcc, s[0:1], vcc
	s_waitcnt vmcnt(6)
	v_mul_f16_sdwa v12, v10, v16 dst_sel:DWORD dst_unused:UNUSED_PAD src0_sel:DWORD src1_sel:WORD_1
	v_addc_co_u32_e32 v5, vcc, 0, v5, vcc
	v_fma_f16 v12, v1, v16, v12
	v_cmp_gt_i32_e32 vcc, 31, v8
	v_cvt_f32_f16_e32 v12, v12
	v_cndmask_b32_e32 v5, v6, v5, vcc
	v_cmp_ne_u32_e32 vcc, 0, v4
	v_cndmask_b32_e64 v4, 0, 1, vcc
	v_lshl_or_b32 v4, v4, 9, v6
	v_cmp_eq_u32_e32 vcc, s16, v8
	v_cndmask_b32_e32 v8, v5, v4, vcc
	v_cvt_f64_f32_e32 v[4:5], v12
	v_lshrrev_b32_e32 v11, 16, v11
	v_and_or_b32 v8, v11, s10, v8
	v_and_b32_e32 v0, 0xffff, v0
	v_mul_f64 v[4:5], v[4:5], s[14:15]
	v_lshl_or_b32 v0, v8, 16, v0
	v_mov_b32_e32 v8, s2
	v_add_co_u32_e32 v2, vcc, s3, v2
	v_addc_co_u32_e32 v3, vcc, v3, v8, vcc
	global_store_dword v[2:3], v0, off
	v_and_or_b32 v0, v5, s18, v4
	v_cmp_ne_u32_e32 vcc, 0, v0
	v_cndmask_b32_e64 v0, 0, 1, vcc
	v_lshrrev_b32_e32 v4, 8, v5
	v_bfe_u32 v8, v5, 20, 11
	v_and_or_b32 v4, v4, s17, v0
	v_sub_u32_e32 v11, 0x3f1, v8
	v_or_b32_e32 v0, 0x1000, v4
	v_med3_i32 v11, v11, 0, 13
	v_lshrrev_b32_e32 v12, v11, v0
	v_mul_f16_sdwa v1, v1, v16 dst_sel:DWORD dst_unused:UNUSED_PAD src0_sel:DWORD src1_sel:WORD_1
	v_lshlrev_b32_e32 v11, v11, v12
	v_fma_f16 v1, v16, v10, -v1
	v_cmp_ne_u32_e32 vcc, v11, v0
	v_cvt_f32_f16_e32 v1, v1
	v_cndmask_b32_e64 v0, 0, 1, vcc
	v_add_u32_e32 v8, 0xfffffc10, v8
	v_or_b32_e32 v0, v12, v0
	v_lshl_or_b32 v11, v8, 12, v4
	v_cmp_gt_i32_e32 vcc, 1, v8
	v_cndmask_b32_e32 v0, v11, v0, vcc
	v_and_b32_e32 v11, 7, v0
	v_lshrrev_b32_e32 v10, 2, v0
	v_cvt_f64_f32_e32 v[0:1], v1
	v_cmp_lt_i32_e32 vcc, 5, v11
	v_cmp_eq_u32_e64 s[0:1], 3, v11
	s_or_b64 vcc, s[0:1], vcc
	v_mul_f64 v[0:1], v[0:1], s[14:15]
	v_addc_co_u32_e32 v10, vcc, 0, v10, vcc
	v_cmp_gt_i32_e32 vcc, 31, v8
	v_cndmask_b32_e32 v10, v6, v10, vcc
	v_cmp_ne_u32_e32 vcc, 0, v4
	v_cndmask_b32_e64 v4, 0, 1, vcc
	v_lshl_or_b32 v4, v4, 9, v6
	v_cmp_eq_u32_e32 vcc, s16, v8
	v_and_or_b32 v0, v1, s18, v0
	v_cndmask_b32_e32 v4, v10, v4, vcc
	v_lshrrev_b32_e32 v5, 16, v5
	v_cmp_ne_u32_e32 vcc, 0, v0
	v_and_or_b32 v8, v5, s10, v4
	v_cndmask_b32_e64 v0, 0, 1, vcc
	v_lshrrev_b32_e32 v4, 8, v1
	v_bfe_u32 v5, v1, 20, 11
	v_and_or_b32 v0, v4, s17, v0
	v_sub_u32_e32 v10, 0x3f1, v5
	v_or_b32_e32 v4, 0x1000, v0
	v_med3_i32 v10, v10, 0, 13
	v_lshrrev_b32_e32 v11, v10, v4
	v_lshlrev_b32_e32 v10, v10, v11
	v_cmp_ne_u32_e32 vcc, v10, v4
	v_cndmask_b32_e64 v4, 0, 1, vcc
	v_add_u32_e32 v10, 0xfffffc10, v5
	v_or_b32_e32 v4, v11, v4
	v_lshl_or_b32 v5, v10, 12, v0
	v_cmp_gt_i32_e32 vcc, 1, v10
	v_cndmask_b32_e32 v4, v5, v4, vcc
	v_and_b32_e32 v5, 7, v4
	v_cmp_lt_i32_e32 vcc, 5, v5
	v_cmp_eq_u32_e64 s[0:1], 3, v5
	v_lshrrev_b32_e32 v4, 2, v4
	s_or_b64 vcc, s[0:1], vcc
	v_addc_co_u32_e32 v11, vcc, 0, v4, vcc
	v_add_u32_e32 v4, 0x200, v36
	ds_read2_b32 v[4:5], v4 offset0:103 offset1:136
	v_cmp_gt_i32_e32 vcc, 31, v10
	v_cndmask_b32_e32 v11, v6, v11, vcc
	v_cmp_ne_u32_e32 vcc, 0, v0
	v_cndmask_b32_e64 v0, 0, 1, vcc
	s_waitcnt lgkmcnt(0)
	v_lshrrev_b32_e32 v12, 16, v4
	s_waitcnt vmcnt(6)
	v_mul_f16_sdwa v13, v12, v9 dst_sel:DWORD dst_unused:UNUSED_PAD src0_sel:DWORD src1_sel:WORD_1
	v_fma_f16 v13, v4, v9, v13
	v_cvt_f32_f16_e32 v13, v13
	v_lshl_or_b32 v0, v0, 9, v6
	v_cmp_eq_u32_e32 vcc, s16, v10
	v_cndmask_b32_e32 v0, v11, v0, vcc
	v_cvt_f64_f32_e32 v[10:11], v13
	v_lshrrev_b32_e32 v1, 16, v1
	v_and_or_b32 v13, v1, s10, v0
	v_add_co_u32_e32 v2, vcc, s3, v2
	v_mul_f64 v[0:1], v[10:11], s[14:15]
	global_load_dword v10, v33, s[6:7] offset:1056
	v_mov_b32_e32 v11, s2
	v_and_b32_e32 v8, 0xffff, v8
	v_addc_co_u32_e32 v3, vcc, v3, v11, vcc
	v_lshl_or_b32 v8, v13, 16, v8
	global_store_dword v[2:3], v8, off
	v_and_or_b32 v0, v1, s18, v0
	v_cmp_ne_u32_e32 vcc, 0, v0
	v_cndmask_b32_e64 v0, 0, 1, vcc
	v_lshrrev_b32_e32 v8, 8, v1
	v_bfe_u32 v11, v1, 20, 11
	v_and_or_b32 v0, v8, s17, v0
	v_sub_u32_e32 v13, 0x3f1, v11
	v_or_b32_e32 v8, 0x1000, v0
	v_med3_i32 v13, v13, 0, 13
	v_lshrrev_b32_e32 v14, v13, v8
	v_mul_f16_sdwa v4, v4, v9 dst_sel:DWORD dst_unused:UNUSED_PAD src0_sel:DWORD src1_sel:WORD_1
	v_lshlrev_b32_e32 v13, v13, v14
	v_fma_f16 v4, v9, v12, -v4
	v_cmp_ne_u32_e32 vcc, v13, v8
	v_cvt_f32_f16_e32 v4, v4
	v_cndmask_b32_e64 v8, 0, 1, vcc
	v_add_u32_e32 v11, 0xfffffc10, v11
	v_or_b32_e32 v8, v14, v8
	v_lshl_or_b32 v13, v11, 12, v0
	v_cmp_gt_i32_e32 vcc, 1, v11
	v_cndmask_b32_e32 v8, v13, v8, vcc
	v_and_b32_e32 v13, 7, v8
	v_lshrrev_b32_e32 v12, 2, v8
	v_cvt_f64_f32_e32 v[8:9], v4
	v_cmp_lt_i32_e32 vcc, 5, v13
	v_cmp_eq_u32_e64 s[0:1], 3, v13
	s_or_b64 vcc, s[0:1], vcc
	v_mul_f64 v[8:9], v[8:9], s[14:15]
	v_addc_co_u32_e32 v4, vcc, 0, v12, vcc
	v_cmp_gt_i32_e32 vcc, 31, v11
	v_cndmask_b32_e32 v4, v6, v4, vcc
	v_cmp_ne_u32_e32 vcc, 0, v0
	v_cndmask_b32_e64 v0, 0, 1, vcc
	v_lshl_or_b32 v0, v0, 9, v6
	v_cmp_eq_u32_e32 vcc, s16, v11
	v_cndmask_b32_e32 v0, v4, v0, vcc
	v_lshrrev_b32_e32 v1, 16, v1
	v_and_or_b32 v4, v1, s10, v0
	v_and_or_b32 v0, v9, s18, v8
	v_cmp_ne_u32_e32 vcc, 0, v0
	v_cndmask_b32_e64 v0, 0, 1, vcc
	v_lshrrev_b32_e32 v1, 8, v9
	v_bfe_u32 v8, v9, 20, 11
	v_and_or_b32 v0, v1, s17, v0
	v_sub_u32_e32 v11, 0x3f1, v8
	v_or_b32_e32 v1, 0x1000, v0
	v_med3_i32 v11, v11, 0, 13
	v_lshrrev_b32_e32 v12, v11, v1
	v_lshlrev_b32_e32 v11, v11, v12
	v_cmp_ne_u32_e32 vcc, v11, v1
	v_cndmask_b32_e64 v1, 0, 1, vcc
	v_or_b32_e32 v1, v12, v1
	global_load_dword v12, v33, s[6:7] offset:1188
	global_load_dword v13, v33, s[6:7] offset:1320
	;; [unrolled: 1-line block ×3, first 2 shown]
	v_add_u32_e32 v8, 0xfffffc10, v8
	v_lshl_or_b32 v11, v8, 12, v0
	v_cmp_gt_i32_e32 vcc, 1, v8
	v_cndmask_b32_e32 v1, v11, v1, vcc
	v_and_b32_e32 v11, 7, v1
	v_cmp_lt_i32_e32 vcc, 5, v11
	v_cmp_eq_u32_e64 s[0:1], 3, v11
	v_lshrrev_b32_e32 v11, 16, v5
	v_lshrrev_b32_e32 v1, 2, v1
	s_or_b64 vcc, s[0:1], vcc
	v_addc_co_u32_e32 v1, vcc, 0, v1, vcc
	v_cmp_gt_i32_e32 vcc, 31, v8
	v_cndmask_b32_e32 v1, v6, v1, vcc
	v_cmp_ne_u32_e32 vcc, 0, v0
	v_cndmask_b32_e64 v0, 0, 1, vcc
	v_lshl_or_b32 v0, v0, 9, v6
	v_cmp_eq_u32_e32 vcc, s16, v8
	v_cndmask_b32_e32 v8, v1, v0, vcc
	s_waitcnt vmcnt(4)
	v_mul_f16_sdwa v15, v11, v10 dst_sel:DWORD dst_unused:UNUSED_PAD src0_sel:DWORD src1_sel:WORD_1
	v_fma_f16 v15, v5, v10, v15
	v_cvt_f32_f16_e32 v15, v15
	v_lshrrev_b32_e32 v9, 16, v9
	v_and_or_b32 v8, v9, s10, v8
	v_and_b32_e32 v4, 0xffff, v4
	v_cvt_f64_f32_e32 v[0:1], v15
	v_lshl_or_b32 v4, v8, 16, v4
	v_mov_b32_e32 v8, s2
	v_add_co_u32_e32 v2, vcc, s3, v2
	v_mul_f64 v[0:1], v[0:1], s[14:15]
	v_addc_co_u32_e32 v3, vcc, v3, v8, vcc
	global_store_dword v[2:3], v4, off
	v_mul_f16_sdwa v5, v5, v10 dst_sel:DWORD dst_unused:UNUSED_PAD src0_sel:DWORD src1_sel:WORD_1
	v_fma_f16 v5, v10, v11, -v5
	v_cvt_f32_f16_e32 v5, v5
	v_and_or_b32 v0, v1, s18, v0
	v_cmp_ne_u32_e32 vcc, 0, v0
	v_cndmask_b32_e64 v0, 0, 1, vcc
	v_lshrrev_b32_e32 v4, 8, v1
	v_bfe_u32 v8, v1, 20, 11
	v_and_or_b32 v0, v4, s17, v0
	v_sub_u32_e32 v9, 0x3f1, v8
	v_or_b32_e32 v4, 0x1000, v0
	v_med3_i32 v9, v9, 0, 13
	v_lshrrev_b32_e32 v15, v9, v4
	v_lshlrev_b32_e32 v9, v9, v15
	v_cmp_ne_u32_e32 vcc, v9, v4
	v_cndmask_b32_e64 v4, 0, 1, vcc
	v_add_u32_e32 v8, 0xfffffc10, v8
	v_or_b32_e32 v4, v15, v4
	v_lshl_or_b32 v9, v8, 12, v0
	v_cmp_gt_i32_e32 vcc, 1, v8
	v_cndmask_b32_e32 v4, v9, v4, vcc
	v_and_b32_e32 v9, 7, v4
	v_cmp_lt_i32_e32 vcc, 5, v9
	v_cmp_eq_u32_e64 s[0:1], 3, v9
	v_lshrrev_b32_e32 v9, 2, v4
	v_cvt_f64_f32_e32 v[4:5], v5
	s_or_b64 vcc, s[0:1], vcc
	v_addc_co_u32_e32 v9, vcc, 0, v9, vcc
	v_mul_f64 v[4:5], v[4:5], s[14:15]
	v_cmp_gt_i32_e32 vcc, 31, v8
	v_cndmask_b32_e32 v9, v6, v9, vcc
	v_cmp_ne_u32_e32 vcc, 0, v0
	v_cndmask_b32_e64 v0, 0, 1, vcc
	v_lshl_or_b32 v0, v0, 9, v6
	v_cmp_eq_u32_e32 vcc, s16, v8
	v_cndmask_b32_e32 v0, v9, v0, vcc
	v_lshrrev_b32_e32 v1, 16, v1
	v_and_or_b32 v10, v1, s10, v0
	v_and_or_b32 v0, v5, s18, v4
	v_cmp_ne_u32_e32 vcc, 0, v0
	v_cndmask_b32_e64 v0, 0, 1, vcc
	v_lshrrev_b32_e32 v1, 8, v5
	v_and_or_b32 v4, v1, s17, v0
	v_bfe_u32 v1, v5, 20, 11
	v_sub_u32_e32 v8, 0x3f1, v1
	v_or_b32_e32 v0, 0x1000, v4
	v_med3_i32 v8, v8, 0, 13
	v_lshrrev_b32_e32 v9, v8, v0
	v_lshlrev_b32_e32 v8, v8, v9
	v_cmp_ne_u32_e32 vcc, v8, v0
	v_cndmask_b32_e64 v0, 0, 1, vcc
	v_add_u32_e32 v8, 0xfffffc10, v1
	v_or_b32_e32 v0, v9, v0
	v_lshl_or_b32 v1, v8, 12, v4
	v_cmp_gt_i32_e32 vcc, 1, v8
	v_cndmask_b32_e32 v0, v1, v0, vcc
	v_and_b32_e32 v1, 7, v0
	v_cmp_lt_i32_e32 vcc, 5, v1
	v_cmp_eq_u32_e64 s[0:1], 3, v1
	v_lshrrev_b32_e32 v0, 2, v0
	s_or_b64 vcc, s[0:1], vcc
	v_addc_co_u32_e32 v9, vcc, 0, v0, vcc
	ds_read2_b32 v[0:1], v7 offset0:41 offset1:74
	v_cmp_gt_i32_e32 vcc, 31, v8
	v_cndmask_b32_e32 v9, v6, v9, vcc
	v_cmp_ne_u32_e32 vcc, 0, v4
	v_cndmask_b32_e64 v4, 0, 1, vcc
	s_waitcnt lgkmcnt(0)
	v_lshrrev_b32_e32 v11, 16, v0
	s_waitcnt vmcnt(3)
	v_mul_f16_sdwa v15, v11, v12 dst_sel:DWORD dst_unused:UNUSED_PAD src0_sel:DWORD src1_sel:WORD_1
	v_fma_f16 v15, v0, v12, v15
	v_cvt_f32_f16_e32 v15, v15
	v_lshl_or_b32 v4, v4, 9, v6
	v_cmp_eq_u32_e32 vcc, s16, v8
	v_cndmask_b32_e32 v4, v9, v4, vcc
	v_cvt_f64_f32_e32 v[8:9], v15
	v_lshrrev_b32_e32 v5, 16, v5
	v_and_or_b32 v15, v5, s10, v4
	v_add_co_u32_e32 v2, vcc, s3, v2
	v_mul_f64 v[4:5], v[8:9], s[14:15]
	v_mov_b32_e32 v9, s2
	v_and_b32_e32 v10, 0xffff, v10
	v_addc_co_u32_e32 v3, vcc, v3, v9, vcc
	v_lshl_or_b32 v8, v15, 16, v10
	global_store_dword v[2:3], v8, off
	v_mul_f16_sdwa v0, v0, v12 dst_sel:DWORD dst_unused:UNUSED_PAD src0_sel:DWORD src1_sel:WORD_1
	v_and_or_b32 v4, v5, s18, v4
	v_cmp_ne_u32_e32 vcc, 0, v4
	v_cndmask_b32_e64 v4, 0, 1, vcc
	v_lshrrev_b32_e32 v8, 8, v5
	v_bfe_u32 v9, v5, 20, 11
	v_and_or_b32 v4, v8, s17, v4
	v_sub_u32_e32 v10, 0x3f1, v9
	v_or_b32_e32 v8, 0x1000, v4
	v_med3_i32 v10, v10, 0, 13
	v_lshrrev_b32_e32 v15, v10, v8
	v_lshlrev_b32_e32 v10, v10, v15
	v_cmp_ne_u32_e32 vcc, v10, v8
	v_fma_f16 v0, v12, v11, -v0
	v_cndmask_b32_e64 v8, 0, 1, vcc
	v_add_u32_e32 v10, 0xfffffc10, v9
	v_cvt_f32_f16_e32 v0, v0
	v_or_b32_e32 v8, v15, v8
	v_lshl_or_b32 v9, v10, 12, v4
	v_cmp_gt_i32_e32 vcc, 1, v10
	v_cndmask_b32_e32 v8, v9, v8, vcc
	v_and_b32_e32 v9, 7, v8
	v_cmp_lt_i32_e32 vcc, 5, v9
	v_cmp_eq_u32_e64 s[0:1], 3, v9
	v_lshrrev_b32_e32 v11, 2, v8
	v_cvt_f64_f32_e32 v[8:9], v0
	s_or_b64 vcc, s[0:1], vcc
	v_addc_co_u32_e32 v0, vcc, 0, v11, vcc
	v_mul_f64 v[8:9], v[8:9], s[14:15]
	v_cmp_gt_i32_e32 vcc, 31, v10
	v_cndmask_b32_e32 v0, v6, v0, vcc
	v_cmp_ne_u32_e32 vcc, 0, v4
	v_cndmask_b32_e64 v4, 0, 1, vcc
	v_lshl_or_b32 v4, v4, 9, v6
	v_cmp_eq_u32_e32 vcc, s16, v10
	v_cndmask_b32_e32 v0, v0, v4, vcc
	v_lshrrev_b32_e32 v4, 16, v5
	v_and_or_b32 v0, v4, s10, v0
	v_and_or_b32 v4, v9, s18, v8
	v_cmp_ne_u32_e32 vcc, 0, v4
	v_cndmask_b32_e64 v4, 0, 1, vcc
	v_lshrrev_b32_e32 v5, 8, v9
	v_bfe_u32 v8, v9, 20, 11
	v_and_or_b32 v4, v5, s17, v4
	v_sub_u32_e32 v10, 0x3f1, v8
	v_or_b32_e32 v5, 0x1000, v4
	v_med3_i32 v10, v10, 0, 13
	v_lshrrev_b32_e32 v11, v10, v5
	v_lshlrev_b32_e32 v10, v10, v11
	v_cmp_ne_u32_e32 vcc, v10, v5
	v_cndmask_b32_e64 v5, 0, 1, vcc
	v_add_u32_e32 v8, 0xfffffc10, v8
	v_or_b32_e32 v5, v11, v5
	v_lshl_or_b32 v10, v8, 12, v4
	v_cmp_gt_i32_e32 vcc, 1, v8
	v_cndmask_b32_e32 v5, v10, v5, vcc
	v_and_b32_e32 v10, 7, v5
	v_cmp_lt_i32_e32 vcc, 5, v10
	v_cmp_eq_u32_e64 s[0:1], 3, v10
	v_lshrrev_b32_e32 v10, 16, v1
	v_lshrrev_b32_e32 v5, 2, v5
	s_or_b64 vcc, s[0:1], vcc
	s_waitcnt vmcnt(3)
	v_mul_f16_sdwa v11, v10, v13 dst_sel:DWORD dst_unused:UNUSED_PAD src0_sel:DWORD src1_sel:WORD_1
	v_addc_co_u32_e32 v5, vcc, 0, v5, vcc
	v_fma_f16 v11, v1, v13, v11
	v_cmp_gt_i32_e32 vcc, 31, v8
	v_cvt_f32_f16_e32 v11, v11
	v_cndmask_b32_e32 v5, v6, v5, vcc
	v_cmp_ne_u32_e32 vcc, 0, v4
	v_cndmask_b32_e64 v4, 0, 1, vcc
	v_lshl_or_b32 v4, v4, 9, v6
	v_cmp_eq_u32_e32 vcc, s16, v8
	v_cndmask_b32_e32 v8, v5, v4, vcc
	v_cvt_f64_f32_e32 v[4:5], v11
	v_lshrrev_b32_e32 v9, 16, v9
	v_and_or_b32 v8, v9, s10, v8
	v_and_b32_e32 v0, 0xffff, v0
	v_mul_f64 v[4:5], v[4:5], s[14:15]
	v_lshl_or_b32 v0, v8, 16, v0
	v_mov_b32_e32 v8, s2
	v_add_co_u32_e32 v2, vcc, s3, v2
	v_addc_co_u32_e32 v3, vcc, v3, v8, vcc
	global_store_dword v[2:3], v0, off
	v_and_or_b32 v0, v5, s18, v4
	v_cmp_ne_u32_e32 vcc, 0, v0
	v_cndmask_b32_e64 v0, 0, 1, vcc
	v_lshrrev_b32_e32 v4, 8, v5
	v_bfe_u32 v8, v5, 20, 11
	v_and_or_b32 v4, v4, s17, v0
	v_sub_u32_e32 v9, 0x3f1, v8
	v_or_b32_e32 v0, 0x1000, v4
	v_med3_i32 v9, v9, 0, 13
	v_lshrrev_b32_e32 v11, v9, v0
	v_lshlrev_b32_e32 v9, v9, v11
	v_mul_f16_sdwa v1, v1, v13 dst_sel:DWORD dst_unused:UNUSED_PAD src0_sel:DWORD src1_sel:WORD_1
	v_cmp_ne_u32_e32 vcc, v9, v0
	v_fma_f16 v1, v13, v10, -v1
	v_cndmask_b32_e64 v0, 0, 1, vcc
	v_add_u32_e32 v8, 0xfffffc10, v8
	v_cvt_f32_f16_e32 v1, v1
	v_or_b32_e32 v0, v11, v0
	v_lshl_or_b32 v9, v8, 12, v4
	v_cmp_gt_i32_e32 vcc, 1, v8
	v_cndmask_b32_e32 v0, v9, v0, vcc
	v_and_b32_e32 v9, 7, v0
	v_cmp_lt_i32_e32 vcc, 5, v9
	v_cmp_eq_u32_e64 s[0:1], 3, v9
	v_lshrrev_b32_e32 v9, 2, v0
	v_cvt_f64_f32_e32 v[0:1], v1
	s_or_b64 vcc, s[0:1], vcc
	v_addc_co_u32_e32 v9, vcc, 0, v9, vcc
	v_mul_f64 v[0:1], v[0:1], s[14:15]
	v_cmp_gt_i32_e32 vcc, 31, v8
	v_cndmask_b32_e32 v9, v6, v9, vcc
	v_cmp_ne_u32_e32 vcc, 0, v4
	v_cndmask_b32_e64 v4, 0, 1, vcc
	v_lshl_or_b32 v4, v4, 9, v6
	v_cmp_eq_u32_e32 vcc, s16, v8
	v_cndmask_b32_e32 v4, v9, v4, vcc
	v_and_or_b32 v0, v1, s18, v0
	v_lshrrev_b32_e32 v5, 16, v5
	v_cmp_ne_u32_e32 vcc, 0, v0
	v_and_or_b32 v9, v5, s10, v4
	v_cndmask_b32_e64 v0, 0, 1, vcc
	v_lshrrev_b32_e32 v4, 8, v1
	v_bfe_u32 v5, v1, 20, 11
	v_and_or_b32 v0, v4, s17, v0
	v_sub_u32_e32 v8, 0x3f1, v5
	v_or_b32_e32 v4, 0x1000, v0
	v_med3_i32 v8, v8, 0, 13
	v_lshrrev_b32_e32 v10, v8, v4
	v_lshlrev_b32_e32 v8, v8, v10
	v_cmp_ne_u32_e32 vcc, v8, v4
	v_cndmask_b32_e64 v4, 0, 1, vcc
	v_add_u32_e32 v8, 0xfffffc10, v5
	v_or_b32_e32 v4, v10, v4
	v_lshl_or_b32 v5, v8, 12, v0
	v_cmp_gt_i32_e32 vcc, 1, v8
	v_cndmask_b32_e32 v4, v5, v4, vcc
	v_and_b32_e32 v5, 7, v4
	v_cmp_lt_i32_e32 vcc, 5, v5
	v_cmp_eq_u32_e64 s[0:1], 3, v5
	v_lshrrev_b32_e32 v4, 2, v4
	s_or_b64 vcc, s[0:1], vcc
	v_addc_co_u32_e32 v10, vcc, 0, v4, vcc
	ds_read2_b32 v[4:5], v7 offset0:107 offset1:140
	v_cmp_gt_i32_e32 vcc, 31, v8
	v_cndmask_b32_e32 v7, v6, v10, vcc
	v_cmp_ne_u32_e32 vcc, 0, v0
	v_cndmask_b32_e64 v0, 0, 1, vcc
	s_waitcnt lgkmcnt(0)
	v_lshrrev_b32_e32 v10, 16, v4
	s_waitcnt vmcnt(3)
	v_mul_f16_sdwa v11, v10, v14 dst_sel:DWORD dst_unused:UNUSED_PAD src0_sel:DWORD src1_sel:WORD_1
	v_fma_f16 v11, v4, v14, v11
	v_cvt_f32_f16_e32 v11, v11
	v_lshl_or_b32 v0, v0, 9, v6
	v_cmp_eq_u32_e32 vcc, s16, v8
	v_cndmask_b32_e32 v0, v7, v0, vcc
	v_cvt_f64_f32_e32 v[7:8], v11
	v_lshrrev_b32_e32 v1, 16, v1
	v_and_or_b32 v11, v1, s10, v0
	v_add_co_u32_e32 v2, vcc, s3, v2
	v_mul_f64 v[0:1], v[7:8], s[14:15]
	v_mov_b32_e32 v8, s2
	v_and_b32_e32 v9, 0xffff, v9
	v_addc_co_u32_e32 v3, vcc, v3, v8, vcc
	v_lshl_or_b32 v7, v11, 16, v9
	global_store_dword v[2:3], v7, off
	v_mul_f16_sdwa v4, v4, v14 dst_sel:DWORD dst_unused:UNUSED_PAD src0_sel:DWORD src1_sel:WORD_1
	v_and_or_b32 v0, v1, s18, v0
	v_cmp_ne_u32_e32 vcc, 0, v0
	v_cndmask_b32_e64 v0, 0, 1, vcc
	v_lshrrev_b32_e32 v7, 8, v1
	v_bfe_u32 v8, v1, 20, 11
	v_and_or_b32 v0, v7, s17, v0
	v_sub_u32_e32 v9, 0x3f1, v8
	v_or_b32_e32 v7, 0x1000, v0
	v_med3_i32 v9, v9, 0, 13
	v_lshrrev_b32_e32 v11, v9, v7
	v_lshlrev_b32_e32 v9, v9, v11
	v_cmp_ne_u32_e32 vcc, v9, v7
	v_fma_f16 v4, v14, v10, -v4
	v_cndmask_b32_e64 v7, 0, 1, vcc
	v_add_u32_e32 v9, 0xfffffc10, v8
	v_cvt_f32_f16_e32 v4, v4
	v_or_b32_e32 v7, v11, v7
	v_lshl_or_b32 v8, v9, 12, v0
	v_cmp_gt_i32_e32 vcc, 1, v9
	v_cndmask_b32_e32 v7, v8, v7, vcc
	v_and_b32_e32 v8, 7, v7
	v_cmp_lt_i32_e32 vcc, 5, v8
	v_cmp_eq_u32_e64 s[0:1], 3, v8
	v_lshrrev_b32_e32 v10, 2, v7
	v_cvt_f64_f32_e32 v[7:8], v4
	s_or_b64 vcc, s[0:1], vcc
	v_addc_co_u32_e32 v4, vcc, 0, v10, vcc
	v_mul_f64 v[7:8], v[7:8], s[14:15]
	v_cmp_gt_i32_e32 vcc, 31, v9
	v_cndmask_b32_e32 v4, v6, v4, vcc
	v_cmp_ne_u32_e32 vcc, 0, v0
	v_cndmask_b32_e64 v0, 0, 1, vcc
	v_lshl_or_b32 v0, v0, 9, v6
	v_cmp_eq_u32_e32 vcc, s16, v9
	v_cndmask_b32_e32 v0, v4, v0, vcc
	v_lshrrev_b32_e32 v1, 16, v1
	v_and_or_b32 v0, v1, s10, v0
	v_and_or_b32 v1, v8, s18, v7
	v_cmp_ne_u32_e32 vcc, 0, v1
	v_cndmask_b32_e64 v1, 0, 1, vcc
	v_lshrrev_b32_e32 v4, 8, v8
	v_bfe_u32 v7, v8, 20, 11
	v_and_or_b32 v1, v4, s17, v1
	v_sub_u32_e32 v9, 0x3f1, v7
	v_or_b32_e32 v4, 0x1000, v1
	v_med3_i32 v9, v9, 0, 13
	v_lshrrev_b32_e32 v10, v9, v4
	v_lshlrev_b32_e32 v9, v9, v10
	v_cmp_ne_u32_e32 vcc, v9, v4
	v_cndmask_b32_e64 v4, 0, 1, vcc
	v_add_u32_e32 v7, 0xfffffc10, v7
	v_or_b32_e32 v4, v10, v4
	v_lshl_or_b32 v9, v7, 12, v1
	v_cmp_gt_i32_e32 vcc, 1, v7
	v_cndmask_b32_e32 v4, v9, v4, vcc
	v_and_b32_e32 v9, 7, v4
	v_cmp_lt_i32_e32 vcc, 5, v9
	v_cmp_eq_u32_e64 s[0:1], 3, v9
	v_lshrrev_b32_e32 v4, 2, v4
	s_or_b64 vcc, s[0:1], vcc
	v_addc_co_u32_e32 v4, vcc, 0, v4, vcc
	v_cmp_gt_i32_e32 vcc, 31, v7
	v_cndmask_b32_e32 v4, v6, v4, vcc
	v_cmp_ne_u32_e32 vcc, 0, v1
	v_cndmask_b32_e64 v1, 0, 1, vcc
	v_lshl_or_b32 v1, v1, 9, v6
	v_cmp_eq_u32_e32 vcc, s16, v7
	v_cndmask_b32_e32 v1, v4, v1, vcc
	v_lshrrev_b32_e32 v4, 16, v8
	v_and_or_b32 v1, v4, s10, v1
	v_and_b32_e32 v0, 0xffff, v0
	v_lshl_or_b32 v4, v1, 16, v0
	v_mov_b32_e32 v1, s2
	v_add_co_u32_e32 v0, vcc, s3, v2
	v_addc_co_u32_e32 v1, vcc, v3, v1, vcc
	global_store_dword v[0:1], v4, off
	global_load_dword v4, v33, s[6:7] offset:1584
	v_lshrrev_b32_e32 v7, 16, v5
	s_waitcnt vmcnt(0)
	v_mul_f16_sdwa v2, v7, v4 dst_sel:DWORD dst_unused:UNUSED_PAD src0_sel:DWORD src1_sel:WORD_1
	v_fma_f16 v2, v5, v4, v2
	v_cvt_f32_f16_e32 v2, v2
	v_mul_f16_sdwa v5, v5, v4 dst_sel:DWORD dst_unused:UNUSED_PAD src0_sel:DWORD src1_sel:WORD_1
	v_fma_f16 v4, v4, v7, -v5
	v_cvt_f32_f16_e32 v4, v4
	v_cvt_f64_f32_e32 v[2:3], v2
	v_cvt_f64_f32_e32 v[4:5], v4
	v_mul_f64 v[2:3], v[2:3], s[14:15]
	v_mul_f64 v[4:5], v[4:5], s[14:15]
	v_and_or_b32 v2, v3, s18, v2
	v_cmp_ne_u32_e32 vcc, 0, v2
	v_cndmask_b32_e64 v2, 0, 1, vcc
	v_lshrrev_b32_e32 v8, 8, v3
	v_bfe_u32 v9, v3, 20, 11
	v_and_or_b32 v2, v8, s17, v2
	v_sub_u32_e32 v10, 0x3f1, v9
	v_or_b32_e32 v8, 0x1000, v2
	v_med3_i32 v10, v10, 0, 13
	v_lshrrev_b32_e32 v11, v10, v8
	v_lshlrev_b32_e32 v10, v10, v11
	v_cmp_ne_u32_e32 vcc, v10, v8
	v_cndmask_b32_e64 v8, 0, 1, vcc
	v_add_u32_e32 v9, 0xfffffc10, v9
	v_or_b32_e32 v8, v11, v8
	v_lshl_or_b32 v10, v9, 12, v2
	v_cmp_gt_i32_e32 vcc, 1, v9
	v_cndmask_b32_e32 v8, v10, v8, vcc
	v_and_b32_e32 v10, 7, v8
	v_cmp_lt_i32_e32 vcc, 5, v10
	v_cmp_eq_u32_e64 s[0:1], 3, v10
	v_lshrrev_b32_e32 v7, 2, v8
	s_or_b64 vcc, s[0:1], vcc
	v_addc_co_u32_e32 v7, vcc, 0, v7, vcc
	v_cmp_gt_i32_e32 vcc, 31, v9
	v_cndmask_b32_e32 v7, v6, v7, vcc
	v_cmp_ne_u32_e32 vcc, 0, v2
	v_cndmask_b32_e64 v2, 0, 1, vcc
	v_lshl_or_b32 v2, v2, 9, v6
	v_cmp_eq_u32_e32 vcc, s16, v9
	v_cndmask_b32_e32 v2, v7, v2, vcc
	v_lshrrev_b32_e32 v3, 16, v3
	v_and_or_b32 v2, v3, s10, v2
	v_and_or_b32 v3, v5, s18, v4
	v_cmp_ne_u32_e32 vcc, 0, v3
	v_cndmask_b32_e64 v3, 0, 1, vcc
	v_lshrrev_b32_e32 v4, 8, v5
	v_bfe_u32 v7, v5, 20, 11
	v_and_or_b32 v3, v4, s17, v3
	v_sub_u32_e32 v8, 0x3f1, v7
	v_or_b32_e32 v4, 0x1000, v3
	v_med3_i32 v8, v8, 0, 13
	v_lshrrev_b32_e32 v9, v8, v4
	v_lshlrev_b32_e32 v8, v8, v9
	v_cmp_ne_u32_e32 vcc, v8, v4
	v_cndmask_b32_e64 v4, 0, 1, vcc
	v_add_u32_e32 v7, 0xfffffc10, v7
	v_or_b32_e32 v4, v9, v4
	v_lshl_or_b32 v8, v7, 12, v3
	v_cmp_gt_i32_e32 vcc, 1, v7
	v_cndmask_b32_e32 v4, v8, v4, vcc
	v_and_b32_e32 v8, 7, v4
	v_cmp_lt_i32_e32 vcc, 5, v8
	v_cmp_eq_u32_e64 s[0:1], 3, v8
	v_lshrrev_b32_e32 v4, 2, v4
	s_or_b64 vcc, s[0:1], vcc
	v_addc_co_u32_e32 v4, vcc, 0, v4, vcc
	v_cmp_gt_i32_e32 vcc, 31, v7
	v_cndmask_b32_e32 v4, v6, v4, vcc
	v_cmp_ne_u32_e32 vcc, 0, v3
	v_cndmask_b32_e64 v3, 0, 1, vcc
	v_lshl_or_b32 v3, v3, 9, v6
	v_cmp_eq_u32_e32 vcc, s16, v7
	v_cndmask_b32_e32 v3, v4, v3, vcc
	v_lshrrev_b32_e32 v4, 16, v5
	v_and_or_b32 v3, v4, s10, v3
	v_and_b32_e32 v2, 0xffff, v2
	v_lshl_or_b32 v2, v3, 16, v2
	v_mov_b32_e32 v3, s2
	v_add_co_u32_e32 v0, vcc, s3, v0
	v_addc_co_u32_e32 v1, vcc, v1, v3, vcc
	global_store_dword v[0:1], v2, off
.LBB0_23:
	s_endpgm
	.section	.rodata,"a",@progbits
	.p2align	6, 0x0
	.amdhsa_kernel bluestein_single_fwd_len429_dim1_half_op_CI_CI
		.amdhsa_group_segment_fixed_size 5148
		.amdhsa_private_segment_fixed_size 0
		.amdhsa_kernarg_size 104
		.amdhsa_user_sgpr_count 6
		.amdhsa_user_sgpr_private_segment_buffer 1
		.amdhsa_user_sgpr_dispatch_ptr 0
		.amdhsa_user_sgpr_queue_ptr 0
		.amdhsa_user_sgpr_kernarg_segment_ptr 1
		.amdhsa_user_sgpr_dispatch_id 0
		.amdhsa_user_sgpr_flat_scratch_init 0
		.amdhsa_user_sgpr_private_segment_size 0
		.amdhsa_uses_dynamic_stack 0
		.amdhsa_system_sgpr_private_segment_wavefront_offset 0
		.amdhsa_system_sgpr_workgroup_id_x 1
		.amdhsa_system_sgpr_workgroup_id_y 0
		.amdhsa_system_sgpr_workgroup_id_z 0
		.amdhsa_system_sgpr_workgroup_info 0
		.amdhsa_system_vgpr_workitem_id 0
		.amdhsa_next_free_vgpr 151
		.amdhsa_next_free_sgpr 30
		.amdhsa_reserve_vcc 1
		.amdhsa_reserve_flat_scratch 0
		.amdhsa_float_round_mode_32 0
		.amdhsa_float_round_mode_16_64 0
		.amdhsa_float_denorm_mode_32 3
		.amdhsa_float_denorm_mode_16_64 3
		.amdhsa_dx10_clamp 1
		.amdhsa_ieee_mode 1
		.amdhsa_fp16_overflow 0
		.amdhsa_exception_fp_ieee_invalid_op 0
		.amdhsa_exception_fp_denorm_src 0
		.amdhsa_exception_fp_ieee_div_zero 0
		.amdhsa_exception_fp_ieee_overflow 0
		.amdhsa_exception_fp_ieee_underflow 0
		.amdhsa_exception_fp_ieee_inexact 0
		.amdhsa_exception_int_div_zero 0
	.end_amdhsa_kernel
	.text
.Lfunc_end0:
	.size	bluestein_single_fwd_len429_dim1_half_op_CI_CI, .Lfunc_end0-bluestein_single_fwd_len429_dim1_half_op_CI_CI
                                        ; -- End function
	.section	.AMDGPU.csdata,"",@progbits
; Kernel info:
; codeLenInByte = 22208
; NumSgprs: 34
; NumVgprs: 151
; ScratchSize: 0
; MemoryBound: 0
; FloatMode: 240
; IeeeMode: 1
; LDSByteSize: 5148 bytes/workgroup (compile time only)
; SGPRBlocks: 4
; VGPRBlocks: 37
; NumSGPRsForWavesPerEU: 34
; NumVGPRsForWavesPerEU: 151
; Occupancy: 1
; WaveLimiterHint : 1
; COMPUTE_PGM_RSRC2:SCRATCH_EN: 0
; COMPUTE_PGM_RSRC2:USER_SGPR: 6
; COMPUTE_PGM_RSRC2:TRAP_HANDLER: 0
; COMPUTE_PGM_RSRC2:TGID_X_EN: 1
; COMPUTE_PGM_RSRC2:TGID_Y_EN: 0
; COMPUTE_PGM_RSRC2:TGID_Z_EN: 0
; COMPUTE_PGM_RSRC2:TIDIG_COMP_CNT: 0
	.type	__hip_cuid_657adb8b6eacfa,@object ; @__hip_cuid_657adb8b6eacfa
	.section	.bss,"aw",@nobits
	.globl	__hip_cuid_657adb8b6eacfa
__hip_cuid_657adb8b6eacfa:
	.byte	0                               ; 0x0
	.size	__hip_cuid_657adb8b6eacfa, 1

	.ident	"AMD clang version 19.0.0git (https://github.com/RadeonOpenCompute/llvm-project roc-6.4.0 25133 c7fe45cf4b819c5991fe208aaa96edf142730f1d)"
	.section	".note.GNU-stack","",@progbits
	.addrsig
	.addrsig_sym __hip_cuid_657adb8b6eacfa
	.amdgpu_metadata
---
amdhsa.kernels:
  - .args:
      - .actual_access:  read_only
        .address_space:  global
        .offset:         0
        .size:           8
        .value_kind:     global_buffer
      - .actual_access:  read_only
        .address_space:  global
        .offset:         8
        .size:           8
        .value_kind:     global_buffer
      - .actual_access:  read_only
        .address_space:  global
        .offset:         16
        .size:           8
        .value_kind:     global_buffer
      - .actual_access:  read_only
        .address_space:  global
        .offset:         24
        .size:           8
        .value_kind:     global_buffer
      - .actual_access:  read_only
        .address_space:  global
        .offset:         32
        .size:           8
        .value_kind:     global_buffer
      - .offset:         40
        .size:           8
        .value_kind:     by_value
      - .address_space:  global
        .offset:         48
        .size:           8
        .value_kind:     global_buffer
      - .address_space:  global
        .offset:         56
        .size:           8
        .value_kind:     global_buffer
      - .address_space:  global
        .offset:         64
        .size:           8
        .value_kind:     global_buffer
      - .address_space:  global
        .offset:         72
        .size:           8
        .value_kind:     global_buffer
      - .offset:         80
        .size:           4
        .value_kind:     by_value
      - .address_space:  global
        .offset:         88
        .size:           8
        .value_kind:     global_buffer
      - .address_space:  global
        .offset:         96
        .size:           8
        .value_kind:     global_buffer
    .group_segment_fixed_size: 5148
    .kernarg_segment_align: 8
    .kernarg_segment_size: 104
    .language:       OpenCL C
    .language_version:
      - 2
      - 0
    .max_flat_workgroup_size: 117
    .name:           bluestein_single_fwd_len429_dim1_half_op_CI_CI
    .private_segment_fixed_size: 0
    .sgpr_count:     34
    .sgpr_spill_count: 0
    .symbol:         bluestein_single_fwd_len429_dim1_half_op_CI_CI.kd
    .uniform_work_group_size: 1
    .uses_dynamic_stack: false
    .vgpr_count:     151
    .vgpr_spill_count: 0
    .wavefront_size: 64
amdhsa.target:   amdgcn-amd-amdhsa--gfx906
amdhsa.version:
  - 1
  - 2
...

	.end_amdgpu_metadata
